;; amdgpu-corpus repo=ROCm/rocFFT kind=compiled arch=gfx1201 opt=O3
	.text
	.amdgcn_target "amdgcn-amd-amdhsa--gfx1201"
	.amdhsa_code_object_version 6
	.protected	fft_rtc_fwd_len1360_factors_17_5_16_wgs_255_tpt_85_halfLds_half_ip_CI_unitstride_sbrr_C2R_dirReg ; -- Begin function fft_rtc_fwd_len1360_factors_17_5_16_wgs_255_tpt_85_halfLds_half_ip_CI_unitstride_sbrr_C2R_dirReg
	.globl	fft_rtc_fwd_len1360_factors_17_5_16_wgs_255_tpt_85_halfLds_half_ip_CI_unitstride_sbrr_C2R_dirReg
	.p2align	8
	.type	fft_rtc_fwd_len1360_factors_17_5_16_wgs_255_tpt_85_halfLds_half_ip_CI_unitstride_sbrr_C2R_dirReg,@function
fft_rtc_fwd_len1360_factors_17_5_16_wgs_255_tpt_85_halfLds_half_ip_CI_unitstride_sbrr_C2R_dirReg: ; @fft_rtc_fwd_len1360_factors_17_5_16_wgs_255_tpt_85_halfLds_half_ip_CI_unitstride_sbrr_C2R_dirReg
; %bb.0:
	s_load_b128 s[4:7], s[0:1], 0x0
	v_mul_u32_u24_e32 v1, 0x304, v0
	s_clause 0x1
	s_load_b64 s[8:9], s[0:1], 0x50
	s_load_b64 s[10:11], s[0:1], 0x18
	v_mov_b32_e32 v5, 0
	v_lshrrev_b32_e32 v1, 16, v1
	s_delay_alu instid0(VALU_DEP_1) | instskip(SKIP_3) | instid1(VALU_DEP_1)
	v_mad_co_u64_u32 v[1:2], null, ttmp9, 3, v[1:2]
	v_mov_b32_e32 v3, 0
	v_mov_b32_e32 v4, 0
	;; [unrolled: 1-line block ×4, first 2 shown]
	s_wait_kmcnt 0x0
	v_cmp_lt_u64_e64 s2, s[6:7], 2
	v_mov_b32_e32 v9, v1
	s_delay_alu instid0(VALU_DEP_2)
	s_and_b32 vcc_lo, exec_lo, s2
	s_cbranch_vccnz .LBB0_8
; %bb.1:
	s_load_b64 s[2:3], s[0:1], 0x10
	v_dual_mov_b32 v3, 0 :: v_dual_mov_b32 v8, v2
	v_dual_mov_b32 v4, 0 :: v_dual_mov_b32 v7, v1
	s_add_nc_u64 s[12:13], s[10:11], 8
	s_mov_b64 s[14:15], 1
	s_wait_kmcnt 0x0
	s_add_nc_u64 s[16:17], s[2:3], 8
	s_mov_b32 s3, 0
.LBB0_2:                                ; =>This Inner Loop Header: Depth=1
	s_load_b64 s[18:19], s[16:17], 0x0
                                        ; implicit-def: $vgpr9_vgpr10
	s_mov_b32 s2, exec_lo
	s_wait_kmcnt 0x0
	v_or_b32_e32 v6, s19, v8
	s_delay_alu instid0(VALU_DEP_1)
	v_cmpx_ne_u64_e32 0, v[5:6]
	s_wait_alu 0xfffe
	s_xor_b32 s20, exec_lo, s2
	s_cbranch_execz .LBB0_4
; %bb.3:                                ;   in Loop: Header=BB0_2 Depth=1
	s_cvt_f32_u32 s2, s18
	s_cvt_f32_u32 s21, s19
	s_sub_nc_u64 s[24:25], 0, s[18:19]
	s_wait_alu 0xfffe
	s_delay_alu instid0(SALU_CYCLE_1) | instskip(SKIP_1) | instid1(SALU_CYCLE_2)
	s_fmamk_f32 s2, s21, 0x4f800000, s2
	s_wait_alu 0xfffe
	v_s_rcp_f32 s2, s2
	s_delay_alu instid0(TRANS32_DEP_1) | instskip(SKIP_1) | instid1(SALU_CYCLE_2)
	s_mul_f32 s2, s2, 0x5f7ffffc
	s_wait_alu 0xfffe
	s_mul_f32 s21, s2, 0x2f800000
	s_wait_alu 0xfffe
	s_delay_alu instid0(SALU_CYCLE_2) | instskip(SKIP_1) | instid1(SALU_CYCLE_2)
	s_trunc_f32 s21, s21
	s_wait_alu 0xfffe
	s_fmamk_f32 s2, s21, 0xcf800000, s2
	s_cvt_u32_f32 s23, s21
	s_wait_alu 0xfffe
	s_delay_alu instid0(SALU_CYCLE_1) | instskip(SKIP_1) | instid1(SALU_CYCLE_2)
	s_cvt_u32_f32 s22, s2
	s_wait_alu 0xfffe
	s_mul_u64 s[26:27], s[24:25], s[22:23]
	s_wait_alu 0xfffe
	s_mul_hi_u32 s29, s22, s27
	s_mul_i32 s28, s22, s27
	s_mul_hi_u32 s2, s22, s26
	s_mul_i32 s30, s23, s26
	s_wait_alu 0xfffe
	s_add_nc_u64 s[28:29], s[2:3], s[28:29]
	s_mul_hi_u32 s21, s23, s26
	s_mul_hi_u32 s31, s23, s27
	s_add_co_u32 s2, s28, s30
	s_wait_alu 0xfffe
	s_add_co_ci_u32 s2, s29, s21
	s_mul_i32 s26, s23, s27
	s_add_co_ci_u32 s27, s31, 0
	s_wait_alu 0xfffe
	s_add_nc_u64 s[26:27], s[2:3], s[26:27]
	s_wait_alu 0xfffe
	v_add_co_u32 v2, s2, s22, s26
	s_delay_alu instid0(VALU_DEP_1) | instskip(SKIP_1) | instid1(VALU_DEP_1)
	s_cmp_lg_u32 s2, 0
	s_add_co_ci_u32 s23, s23, s27
	v_readfirstlane_b32 s22, v2
	s_wait_alu 0xfffe
	s_delay_alu instid0(VALU_DEP_1)
	s_mul_u64 s[24:25], s[24:25], s[22:23]
	s_wait_alu 0xfffe
	s_mul_hi_u32 s27, s22, s25
	s_mul_i32 s26, s22, s25
	s_mul_hi_u32 s2, s22, s24
	s_mul_i32 s28, s23, s24
	s_wait_alu 0xfffe
	s_add_nc_u64 s[26:27], s[2:3], s[26:27]
	s_mul_hi_u32 s21, s23, s24
	s_mul_hi_u32 s22, s23, s25
	s_wait_alu 0xfffe
	s_add_co_u32 s2, s26, s28
	s_add_co_ci_u32 s2, s27, s21
	s_mul_i32 s24, s23, s25
	s_add_co_ci_u32 s25, s22, 0
	s_wait_alu 0xfffe
	s_add_nc_u64 s[24:25], s[2:3], s[24:25]
	s_wait_alu 0xfffe
	v_add_co_u32 v2, s2, v2, s24
	s_delay_alu instid0(VALU_DEP_1) | instskip(SKIP_1) | instid1(VALU_DEP_1)
	s_cmp_lg_u32 s2, 0
	s_add_co_ci_u32 s2, s23, s25
	v_mul_hi_u32 v6, v7, v2
	s_wait_alu 0xfffe
	v_mad_co_u64_u32 v[9:10], null, v7, s2, 0
	v_mad_co_u64_u32 v[11:12], null, v8, v2, 0
	;; [unrolled: 1-line block ×3, first 2 shown]
	s_delay_alu instid0(VALU_DEP_3) | instskip(SKIP_1) | instid1(VALU_DEP_4)
	v_add_co_u32 v2, vcc_lo, v6, v9
	s_wait_alu 0xfffd
	v_add_co_ci_u32_e32 v6, vcc_lo, 0, v10, vcc_lo
	s_delay_alu instid0(VALU_DEP_2) | instskip(SKIP_1) | instid1(VALU_DEP_2)
	v_add_co_u32 v2, vcc_lo, v2, v11
	s_wait_alu 0xfffd
	v_add_co_ci_u32_e32 v2, vcc_lo, v6, v12, vcc_lo
	s_wait_alu 0xfffd
	v_add_co_ci_u32_e32 v6, vcc_lo, 0, v14, vcc_lo
	s_delay_alu instid0(VALU_DEP_2) | instskip(SKIP_1) | instid1(VALU_DEP_2)
	v_add_co_u32 v2, vcc_lo, v2, v13
	s_wait_alu 0xfffd
	v_add_co_ci_u32_e32 v6, vcc_lo, 0, v6, vcc_lo
	s_delay_alu instid0(VALU_DEP_2) | instskip(SKIP_1) | instid1(VALU_DEP_3)
	v_mul_lo_u32 v11, s19, v2
	v_mad_co_u64_u32 v[9:10], null, s18, v2, 0
	v_mul_lo_u32 v12, s18, v6
	s_delay_alu instid0(VALU_DEP_2) | instskip(NEXT) | instid1(VALU_DEP_2)
	v_sub_co_u32 v9, vcc_lo, v7, v9
	v_add3_u32 v10, v10, v12, v11
	s_delay_alu instid0(VALU_DEP_1) | instskip(SKIP_1) | instid1(VALU_DEP_1)
	v_sub_nc_u32_e32 v11, v8, v10
	s_wait_alu 0xfffd
	v_subrev_co_ci_u32_e64 v11, s2, s19, v11, vcc_lo
	v_add_co_u32 v12, s2, v2, 2
	s_wait_alu 0xf1ff
	v_add_co_ci_u32_e64 v13, s2, 0, v6, s2
	v_sub_co_u32 v14, s2, v9, s18
	v_sub_co_ci_u32_e32 v10, vcc_lo, v8, v10, vcc_lo
	s_wait_alu 0xf1ff
	v_subrev_co_ci_u32_e64 v11, s2, 0, v11, s2
	s_delay_alu instid0(VALU_DEP_3) | instskip(NEXT) | instid1(VALU_DEP_3)
	v_cmp_le_u32_e32 vcc_lo, s18, v14
	v_cmp_eq_u32_e64 s2, s19, v10
	s_wait_alu 0xfffd
	v_cndmask_b32_e64 v14, 0, -1, vcc_lo
	v_cmp_le_u32_e32 vcc_lo, s19, v11
	s_wait_alu 0xfffd
	v_cndmask_b32_e64 v15, 0, -1, vcc_lo
	v_cmp_le_u32_e32 vcc_lo, s18, v9
	;; [unrolled: 3-line block ×3, first 2 shown]
	s_wait_alu 0xfffd
	v_cndmask_b32_e64 v16, 0, -1, vcc_lo
	v_cmp_eq_u32_e32 vcc_lo, s19, v11
	s_wait_alu 0xf1ff
	s_delay_alu instid0(VALU_DEP_2)
	v_cndmask_b32_e64 v9, v16, v9, s2
	s_wait_alu 0xfffd
	v_cndmask_b32_e32 v11, v15, v14, vcc_lo
	v_add_co_u32 v14, vcc_lo, v2, 1
	s_wait_alu 0xfffd
	v_add_co_ci_u32_e32 v15, vcc_lo, 0, v6, vcc_lo
	s_delay_alu instid0(VALU_DEP_3) | instskip(SKIP_1) | instid1(VALU_DEP_2)
	v_cmp_ne_u32_e32 vcc_lo, 0, v11
	s_wait_alu 0xfffd
	v_dual_cndmask_b32 v10, v15, v13 :: v_dual_cndmask_b32 v11, v14, v12
	v_cmp_ne_u32_e32 vcc_lo, 0, v9
	s_wait_alu 0xfffd
	s_delay_alu instid0(VALU_DEP_2) | instskip(NEXT) | instid1(VALU_DEP_3)
	v_cndmask_b32_e32 v10, v6, v10, vcc_lo
	v_cndmask_b32_e32 v9, v2, v11, vcc_lo
.LBB0_4:                                ;   in Loop: Header=BB0_2 Depth=1
	s_wait_alu 0xfffe
	s_and_not1_saveexec_b32 s2, s20
	s_cbranch_execz .LBB0_6
; %bb.5:                                ;   in Loop: Header=BB0_2 Depth=1
	v_cvt_f32_u32_e32 v2, s18
	s_sub_co_i32 s20, 0, s18
	s_delay_alu instid0(VALU_DEP_1) | instskip(NEXT) | instid1(TRANS32_DEP_1)
	v_rcp_iflag_f32_e32 v2, v2
	v_mul_f32_e32 v2, 0x4f7ffffe, v2
	s_delay_alu instid0(VALU_DEP_1) | instskip(SKIP_1) | instid1(VALU_DEP_1)
	v_cvt_u32_f32_e32 v2, v2
	s_wait_alu 0xfffe
	v_mul_lo_u32 v6, s20, v2
	s_delay_alu instid0(VALU_DEP_1) | instskip(NEXT) | instid1(VALU_DEP_1)
	v_mul_hi_u32 v6, v2, v6
	v_add_nc_u32_e32 v2, v2, v6
	s_delay_alu instid0(VALU_DEP_1) | instskip(NEXT) | instid1(VALU_DEP_1)
	v_mul_hi_u32 v2, v7, v2
	v_mul_lo_u32 v6, v2, s18
	v_add_nc_u32_e32 v9, 1, v2
	s_delay_alu instid0(VALU_DEP_2) | instskip(NEXT) | instid1(VALU_DEP_1)
	v_sub_nc_u32_e32 v6, v7, v6
	v_subrev_nc_u32_e32 v10, s18, v6
	v_cmp_le_u32_e32 vcc_lo, s18, v6
	s_wait_alu 0xfffd
	s_delay_alu instid0(VALU_DEP_2) | instskip(SKIP_2) | instid1(VALU_DEP_3)
	v_cndmask_b32_e32 v6, v6, v10, vcc_lo
	v_mov_b32_e32 v10, v5
	v_cndmask_b32_e32 v2, v2, v9, vcc_lo
	v_cmp_le_u32_e32 vcc_lo, s18, v6
	s_delay_alu instid0(VALU_DEP_2) | instskip(SKIP_1) | instid1(VALU_DEP_1)
	v_add_nc_u32_e32 v9, 1, v2
	s_wait_alu 0xfffd
	v_cndmask_b32_e32 v9, v2, v9, vcc_lo
.LBB0_6:                                ;   in Loop: Header=BB0_2 Depth=1
	s_wait_alu 0xfffe
	s_or_b32 exec_lo, exec_lo, s2
	s_load_b64 s[20:21], s[12:13], 0x0
	v_mul_lo_u32 v2, v10, s18
	v_mul_lo_u32 v6, v9, s19
	v_mad_co_u64_u32 v[11:12], null, v9, s18, 0
	s_add_nc_u64 s[14:15], s[14:15], 1
	s_add_nc_u64 s[12:13], s[12:13], 8
	s_wait_alu 0xfffe
	v_cmp_ge_u64_e64 s2, s[14:15], s[6:7]
	s_add_nc_u64 s[16:17], s[16:17], 8
	s_delay_alu instid0(VALU_DEP_2) | instskip(NEXT) | instid1(VALU_DEP_3)
	v_add3_u32 v2, v12, v6, v2
	v_sub_co_u32 v6, vcc_lo, v7, v11
	s_wait_alu 0xfffd
	s_delay_alu instid0(VALU_DEP_2) | instskip(SKIP_3) | instid1(VALU_DEP_2)
	v_sub_co_ci_u32_e32 v2, vcc_lo, v8, v2, vcc_lo
	s_and_b32 vcc_lo, exec_lo, s2
	s_wait_kmcnt 0x0
	v_mul_lo_u32 v7, s21, v6
	v_mul_lo_u32 v2, s20, v2
	v_mad_co_u64_u32 v[3:4], null, s20, v6, v[3:4]
	s_delay_alu instid0(VALU_DEP_1)
	v_add3_u32 v4, v7, v4, v2
	s_wait_alu 0xfffe
	s_cbranch_vccnz .LBB0_8
; %bb.7:                                ;   in Loop: Header=BB0_2 Depth=1
	v_dual_mov_b32 v7, v9 :: v_dual_mov_b32 v8, v10
	s_branch .LBB0_2
.LBB0_8:
	s_lshl_b64 s[2:3], s[6:7], 3
	v_mul_hi_u32 v2, 0xaaaaaaab, v1
	s_wait_alu 0xfffe
	s_add_nc_u64 s[2:3], s[10:11], s[2:3]
	s_load_b64 s[0:1], s[0:1], 0x20
	s_load_b64 s[2:3], s[2:3], 0x0
	v_mul_hi_u32 v5, 0x3030304, v0
	s_delay_alu instid0(VALU_DEP_2) | instskip(NEXT) | instid1(VALU_DEP_1)
	v_lshrrev_b32_e32 v2, 1, v2
	v_lshl_add_u32 v6, v2, 1, v2
	s_delay_alu instid0(VALU_DEP_1)
	v_sub_nc_u32_e32 v1, v1, v6
	s_wait_kmcnt 0x0
	v_cmp_gt_u64_e32 vcc_lo, s[0:1], v[9:10]
	v_mul_lo_u32 v7, s2, v10
	v_mul_lo_u32 v8, s3, v9
	v_mad_co_u64_u32 v[2:3], null, s2, v9, v[3:4]
	v_mul_u32_u24_e32 v4, 0x55, v5
	v_mul_u32_u24_e32 v6, 0x551, v1
	s_delay_alu instid0(VALU_DEP_2) | instskip(NEXT) | instid1(VALU_DEP_4)
	v_sub_nc_u32_e32 v0, v0, v4
	v_add3_u32 v3, v8, v3, v7
	s_delay_alu instid0(VALU_DEP_3) | instskip(NEXT) | instid1(VALU_DEP_2)
	v_lshlrev_b32_e32 v22, 2, v6
	v_lshlrev_b64_e32 v[2:3], 2, v[2:3]
	s_and_saveexec_b32 s1, vcc_lo
	s_cbranch_execz .LBB0_12
; %bb.9:
	v_mov_b32_e32 v1, 0
	s_delay_alu instid0(VALU_DEP_2) | instskip(SKIP_2) | instid1(VALU_DEP_3)
	v_add_co_u32 v4, s0, s8, v2
	s_wait_alu 0xf1ff
	v_add_co_ci_u32_e64 v5, s0, s9, v3, s0
	v_lshlrev_b64_e32 v[7:8], 2, v[0:1]
	v_lshlrev_b32_e32 v1, 2, v0
	s_mov_b32 s2, exec_lo
	s_delay_alu instid0(VALU_DEP_1) | instskip(NEXT) | instid1(VALU_DEP_3)
	v_add3_u32 v1, 0, v22, v1
	v_add_co_u32 v7, s0, v4, v7
	s_wait_alu 0xf1ff
	v_add_co_ci_u32_e64 v8, s0, v5, v8, s0
	s_delay_alu instid0(VALU_DEP_3)
	v_add_nc_u32_e32 v25, 0x600, v1
	v_add_nc_u32_e32 v26, 0x800, v1
	s_clause 0xf
	global_load_b32 v9, v[7:8], off
	global_load_b32 v10, v[7:8], off offset:340
	global_load_b32 v11, v[7:8], off offset:680
	;; [unrolled: 1-line block ×15, first 2 shown]
	v_add_nc_u32_e32 v8, 0x400, v1
	v_add_nc_u32_e32 v27, 0xc00, v1
	v_add_nc_u32_e32 v28, 0xe00, v1
	v_add_nc_u32_e32 v29, 0x1000, v1
	s_wait_loadcnt 0xe
	ds_store_2addr_b32 v1, v9, v10 offset1:85
	s_wait_loadcnt 0xc
	ds_store_2addr_b32 v1, v11, v12 offset0:170 offset1:255
	s_wait_loadcnt 0xa
	ds_store_2addr_b32 v8, v13, v14 offset0:84 offset1:169
	;; [unrolled: 2-line block ×7, first 2 shown]
	v_cmpx_eq_u32_e32 0x54, v0
	s_cbranch_execz .LBB0_11
; %bb.10:
	global_load_b32 v4, v[4:5], off offset:5440
	v_mov_b32_e32 v0, 0x54
	s_wait_loadcnt 0x0
	ds_store_b32 v1, v4 offset:5104
.LBB0_11:
	s_wait_alu 0xfffe
	s_or_b32 exec_lo, exec_lo, s2
.LBB0_12:
	s_wait_alu 0xfffe
	s_or_b32 exec_lo, exec_lo, s1
	v_lshl_add_u32 v20, v6, 2, 0
	v_lshlrev_b32_e32 v7, 2, v0
	global_wb scope:SCOPE_SE
	s_wait_dscnt 0x0
	s_barrier_signal -1
	s_barrier_wait -1
	global_inv scope:SCOPE_SE
	v_add_nc_u32_e32 v21, v20, v7
	v_sub_nc_u32_e32 v6, v20, v7
	s_mov_b32 s1, exec_lo
                                        ; implicit-def: $vgpr4_vgpr5
	ds_load_u16 v10, v21
	ds_load_u16 v11, v6 offset:5440
	s_wait_dscnt 0x0
	v_add_f16_e32 v9, v11, v10
	v_sub_f16_e32 v8, v10, v11
	v_cmpx_ne_u32_e32 0, v0
	s_wait_alu 0xfffe
	s_xor_b32 s1, exec_lo, s1
	s_cbranch_execz .LBB0_14
; %bb.13:
	v_mov_b32_e32 v1, 0
	v_add_f16_e32 v9, v11, v10
	v_sub_f16_e32 v10, v10, v11
	s_delay_alu instid0(VALU_DEP_3) | instskip(NEXT) | instid1(VALU_DEP_1)
	v_lshlrev_b64_e32 v[4:5], 2, v[0:1]
	v_add_co_u32 v4, s0, s4, v4
	s_wait_alu 0xf1ff
	s_delay_alu instid0(VALU_DEP_2)
	v_add_co_ci_u32_e64 v5, s0, s5, v5, s0
	global_load_b32 v4, v[4:5], off offset:5372
	ds_load_u16 v5, v6 offset:5442
	ds_load_u16 v8, v21 offset:2
	s_wait_dscnt 0x0
	v_add_f16_e32 v11, v5, v8
	v_sub_f16_e32 v5, v8, v5
	s_wait_loadcnt 0x0
	v_lshrrev_b32_e32 v12, 16, v4
	s_delay_alu instid0(VALU_DEP_1) | instskip(NEXT) | instid1(VALU_DEP_3)
	v_fma_f16 v13, -v10, v12, v9
	v_fma_f16 v14, v11, v12, -v5
	v_fma_f16 v8, v11, v12, v5
	v_fma_f16 v9, v10, v12, v9
	s_delay_alu instid0(VALU_DEP_4) | instskip(NEXT) | instid1(VALU_DEP_4)
	v_fmac_f16_e32 v13, v4, v11
	v_fmac_f16_e32 v14, v10, v4
	s_delay_alu instid0(VALU_DEP_4) | instskip(NEXT) | instid1(VALU_DEP_4)
	v_fmac_f16_e32 v8, v10, v4
	v_fma_f16 v9, -v4, v11, v9
	v_dual_mov_b32 v5, v1 :: v_dual_mov_b32 v4, v0
	s_delay_alu instid0(VALU_DEP_4)
	v_pack_b32_f16 v10, v13, v14
	ds_store_b32 v6, v10 offset:5440
.LBB0_14:
	s_wait_alu 0xfffe
	s_and_not1_saveexec_b32 s0, s1
	s_cbranch_execz .LBB0_16
; %bb.15:
	ds_load_b32 v1, v20 offset:2720
	v_mov_b32_e32 v4, 0
	v_mov_b32_e32 v5, 0
	s_wait_dscnt 0x0
	v_pk_mul_f16 v1, 0xc0004000, v1
	ds_store_b32 v20, v1 offset:2720
.LBB0_16:
	s_wait_alu 0xfffe
	s_or_b32 exec_lo, exec_lo, s0
	v_lshlrev_b64_e32 v[4:5], 2, v[4:5]
	s_add_nc_u64 s[0:1], s[4:5], 0x14fc
	v_perm_b32 v8, v8, v9, 0x5040100
	s_wait_alu 0xfffe
	s_delay_alu instid0(VALU_DEP_2)
	v_add_co_u32 v4, s0, s0, v4
	s_wait_alu 0xf1ff
	v_add_co_ci_u32_e64 v5, s0, s1, v5, s0
	s_mov_b32 s1, exec_lo
	s_clause 0x6
	global_load_b32 v1, v[4:5], off offset:340
	global_load_b32 v10, v[4:5], off offset:680
	;; [unrolled: 1-line block ×7, first 2 shown]
	ds_store_b32 v21, v8
	ds_load_b32 v5, v21 offset:340
	ds_load_b32 v8, v6 offset:5100
	s_wait_dscnt 0x1
	v_lshrrev_b32_e32 v9, 16, v5
	s_wait_dscnt 0x0
	v_lshrrev_b32_e32 v15, 16, v8
	v_add_f16_e32 v16, v5, v8
	v_sub_f16_e32 v5, v5, v8
	s_delay_alu instid0(VALU_DEP_3) | instskip(SKIP_3) | instid1(VALU_DEP_1)
	v_add_f16_e32 v8, v15, v9
	v_sub_f16_e32 v9, v9, v15
	s_wait_loadcnt 0x6
	v_lshrrev_b32_e32 v17, 16, v1
	v_fma_f16 v15, v5, v17, v16
	s_delay_alu instid0(VALU_DEP_3) | instskip(SKIP_2) | instid1(VALU_DEP_4)
	v_fma_f16 v18, v8, v17, v9
	v_fma_f16 v16, -v5, v17, v16
	v_fma_f16 v9, v8, v17, -v9
	v_fma_f16 v15, -v1, v8, v15
	s_delay_alu instid0(VALU_DEP_4) | instskip(NEXT) | instid1(VALU_DEP_4)
	v_fmac_f16_e32 v18, v5, v1
	v_fmac_f16_e32 v16, v1, v8
	s_delay_alu instid0(VALU_DEP_4) | instskip(NEXT) | instid1(VALU_DEP_3)
	v_fmac_f16_e32 v9, v5, v1
	v_pack_b32_f16 v1, v15, v18
	s_wait_loadcnt 0x5
	v_lshrrev_b32_e32 v15, 16, v10
	s_delay_alu instid0(VALU_DEP_3)
	v_pack_b32_f16 v5, v16, v9
	ds_store_b32 v21, v1 offset:340
	ds_store_b32 v6, v5 offset:5100
	ds_load_b32 v1, v21 offset:680
	ds_load_b32 v5, v6 offset:4760
	s_wait_dscnt 0x1
	v_lshrrev_b32_e32 v8, 16, v1
	s_wait_dscnt 0x0
	v_lshrrev_b32_e32 v9, 16, v5
	v_add_f16_e32 v16, v1, v5
	v_sub_f16_e32 v1, v1, v5
	s_delay_alu instid0(VALU_DEP_3) | instskip(SKIP_1) | instid1(VALU_DEP_3)
	v_add_f16_e32 v5, v9, v8
	v_sub_f16_e32 v8, v8, v9
	v_fma_f16 v9, v1, v15, v16
	v_fma_f16 v16, -v1, v15, v16
	s_delay_alu instid0(VALU_DEP_3) | instskip(SKIP_1) | instid1(VALU_DEP_4)
	v_fma_f16 v17, v5, v15, v8
	v_fma_f16 v8, v5, v15, -v8
	v_fma_f16 v9, -v10, v5, v9
	s_delay_alu instid0(VALU_DEP_4) | instskip(NEXT) | instid1(VALU_DEP_4)
	v_fmac_f16_e32 v16, v10, v5
	v_fmac_f16_e32 v17, v1, v10
	s_delay_alu instid0(VALU_DEP_4) | instskip(SKIP_2) | instid1(VALU_DEP_3)
	v_fmac_f16_e32 v8, v1, v10
	s_wait_loadcnt 0x4
	v_lshrrev_b32_e32 v10, 16, v11
	v_pack_b32_f16 v1, v9, v17
	s_delay_alu instid0(VALU_DEP_3)
	v_pack_b32_f16 v5, v16, v8
	ds_store_b32 v21, v1 offset:680
	ds_store_b32 v6, v5 offset:4760
	ds_load_b32 v1, v21 offset:1020
	ds_load_b32 v5, v6 offset:4420
	s_wait_dscnt 0x1
	v_lshrrev_b32_e32 v8, 16, v1
	s_wait_dscnt 0x0
	v_lshrrev_b32_e32 v9, 16, v5
	v_add_f16_e32 v15, v1, v5
	v_sub_f16_e32 v1, v1, v5
	s_delay_alu instid0(VALU_DEP_3) | instskip(SKIP_1) | instid1(VALU_DEP_3)
	v_add_f16_e32 v5, v9, v8
	v_sub_f16_e32 v8, v8, v9
	v_fma_f16 v9, v1, v10, v15
	v_fma_f16 v15, -v1, v10, v15
	s_delay_alu instid0(VALU_DEP_3) | instskip(SKIP_1) | instid1(VALU_DEP_4)
	v_fma_f16 v16, v5, v10, v8
	v_fma_f16 v8, v5, v10, -v8
	v_fma_f16 v9, -v11, v5, v9
	s_delay_alu instid0(VALU_DEP_4) | instskip(SKIP_4) | instid1(VALU_DEP_2)
	v_fmac_f16_e32 v15, v11, v5
	s_wait_loadcnt 0x3
	v_lshrrev_b32_e32 v10, 16, v12
	v_fmac_f16_e32 v16, v1, v11
	v_fmac_f16_e32 v8, v1, v11
	v_pack_b32_f16 v1, v9, v16
	s_delay_alu instid0(VALU_DEP_2)
	v_pack_b32_f16 v5, v15, v8
	ds_store_b32 v21, v1 offset:1020
	ds_store_b32 v6, v5 offset:4420
	ds_load_b32 v1, v21 offset:1360
	ds_load_b32 v5, v6 offset:4080
	s_wait_dscnt 0x1
	v_lshrrev_b32_e32 v8, 16, v1
	s_wait_dscnt 0x0
	v_lshrrev_b32_e32 v9, 16, v5
	v_add_f16_e32 v11, v1, v5
	v_sub_f16_e32 v1, v1, v5
	s_delay_alu instid0(VALU_DEP_3) | instskip(SKIP_1) | instid1(VALU_DEP_3)
	v_add_f16_e32 v5, v9, v8
	v_sub_f16_e32 v8, v8, v9
	v_fma_f16 v9, v1, v10, v11
	v_fma_f16 v11, -v1, v10, v11
	s_delay_alu instid0(VALU_DEP_3) | instskip(SKIP_1) | instid1(VALU_DEP_4)
	v_fma_f16 v15, v5, v10, v8
	v_fma_f16 v8, v5, v10, -v8
	v_fma_f16 v9, -v12, v5, v9
	s_delay_alu instid0(VALU_DEP_4) | instskip(SKIP_4) | instid1(VALU_DEP_2)
	v_fmac_f16_e32 v11, v12, v5
	s_wait_loadcnt 0x2
	v_lshrrev_b32_e32 v10, 16, v13
	v_fmac_f16_e32 v15, v1, v12
	v_fmac_f16_e32 v8, v1, v12
	v_pack_b32_f16 v1, v9, v15
	s_delay_alu instid0(VALU_DEP_2)
	v_pack_b32_f16 v5, v11, v8
	ds_store_b32 v21, v1 offset:1360
	ds_store_b32 v6, v5 offset:4080
	ds_load_b32 v1, v21 offset:1700
	ds_load_b32 v5, v6 offset:3740
	s_wait_dscnt 0x1
	v_lshrrev_b32_e32 v8, 16, v1
	s_wait_dscnt 0x0
	v_lshrrev_b32_e32 v9, 16, v5
	v_add_f16_e32 v11, v1, v5
	v_sub_f16_e32 v1, v1, v5
	s_delay_alu instid0(VALU_DEP_3) | instskip(SKIP_1) | instid1(VALU_DEP_3)
	v_add_f16_e32 v5, v9, v8
	v_sub_f16_e32 v8, v8, v9
	v_fma_f16 v9, v1, v10, v11
	v_fma_f16 v11, -v1, v10, v11
	s_delay_alu instid0(VALU_DEP_3) | instskip(SKIP_1) | instid1(VALU_DEP_4)
	v_fma_f16 v12, v5, v10, v8
	v_fma_f16 v8, v5, v10, -v8
	v_fma_f16 v9, -v13, v5, v9
	s_delay_alu instid0(VALU_DEP_4) | instskip(SKIP_4) | instid1(VALU_DEP_2)
	v_fmac_f16_e32 v11, v13, v5
	s_wait_loadcnt 0x1
	v_lshrrev_b32_e32 v10, 16, v14
	v_fmac_f16_e32 v12, v1, v13
	v_fmac_f16_e32 v8, v1, v13
	v_pack_b32_f16 v1, v9, v12
	s_delay_alu instid0(VALU_DEP_2)
	v_pack_b32_f16 v5, v11, v8
	ds_store_b32 v21, v1 offset:1700
	ds_store_b32 v6, v5 offset:3740
	ds_load_b32 v1, v21 offset:2040
	ds_load_b32 v5, v6 offset:3400
	s_wait_dscnt 0x1
	v_lshrrev_b32_e32 v8, 16, v1
	s_wait_dscnt 0x0
	v_lshrrev_b32_e32 v9, 16, v5
	v_add_f16_e32 v11, v1, v5
	v_sub_f16_e32 v1, v1, v5
	s_delay_alu instid0(VALU_DEP_3) | instskip(SKIP_1) | instid1(VALU_DEP_3)
	v_add_f16_e32 v5, v9, v8
	v_sub_f16_e32 v8, v8, v9
	v_fma_f16 v9, v1, v10, v11
	v_fma_f16 v11, -v1, v10, v11
	s_delay_alu instid0(VALU_DEP_3) | instskip(SKIP_1) | instid1(VALU_DEP_4)
	v_fma_f16 v12, v5, v10, v8
	v_fma_f16 v8, v5, v10, -v8
	v_fma_f16 v9, -v14, v5, v9
	s_delay_alu instid0(VALU_DEP_4) | instskip(SKIP_4) | instid1(VALU_DEP_2)
	v_fmac_f16_e32 v11, v14, v5
	s_wait_loadcnt 0x0
	v_lshrrev_b32_e32 v10, 16, v4
	v_fmac_f16_e32 v12, v1, v14
	v_fmac_f16_e32 v8, v1, v14
	v_pack_b32_f16 v1, v9, v12
	s_delay_alu instid0(VALU_DEP_2)
	v_pack_b32_f16 v5, v11, v8
	ds_store_b32 v21, v1 offset:2040
	ds_store_b32 v6, v5 offset:3400
	ds_load_b32 v1, v21 offset:2380
	ds_load_b32 v5, v6 offset:3060
	s_wait_dscnt 0x1
	v_lshrrev_b32_e32 v8, 16, v1
	s_wait_dscnt 0x0
	v_lshrrev_b32_e32 v9, 16, v5
	v_add_f16_e32 v11, v1, v5
	v_sub_f16_e32 v1, v1, v5
	s_delay_alu instid0(VALU_DEP_3) | instskip(SKIP_1) | instid1(VALU_DEP_3)
	v_add_f16_e32 v5, v9, v8
	v_sub_f16_e32 v8, v8, v9
	v_fma_f16 v9, v1, v10, v11
	v_fma_f16 v11, -v1, v10, v11
	s_delay_alu instid0(VALU_DEP_3) | instskip(SKIP_1) | instid1(VALU_DEP_4)
	v_fma_f16 v12, v5, v10, v8
	v_fma_f16 v8, v5, v10, -v8
	v_fma_f16 v9, -v4, v5, v9
	s_delay_alu instid0(VALU_DEP_4) | instskip(NEXT) | instid1(VALU_DEP_4)
	v_fmac_f16_e32 v11, v4, v5
	v_fmac_f16_e32 v12, v1, v4
	s_delay_alu instid0(VALU_DEP_4) | instskip(SKIP_1) | instid1(VALU_DEP_3)
	v_fmac_f16_e32 v8, v1, v4
	v_add3_u32 v1, 0, v7, v22
	v_pack_b32_f16 v4, v9, v12
	s_delay_alu instid0(VALU_DEP_3) | instskip(NEXT) | instid1(VALU_DEP_3)
	v_pack_b32_f16 v5, v11, v8
	v_add_nc_u32_e32 v7, 0x1200, v1
	v_add_nc_u32_e32 v27, 0x1000, v1
	ds_store_b32 v21, v4 offset:2380
	ds_store_b32 v6, v5 offset:3060
	global_wb scope:SCOPE_SE
	s_wait_dscnt 0x0
	s_barrier_signal -1
	s_barrier_wait -1
	global_inv scope:SCOPE_SE
	global_wb scope:SCOPE_SE
	s_barrier_signal -1
	s_barrier_wait -1
	global_inv scope:SCOPE_SE
	ds_load_2addr_b32 v[18:19], v1 offset0:80 offset1:160
	ds_load_2addr_b32 v[4:5], v7 offset0:48 offset1:128
	v_add_nc_u32_e32 v8, 0x200, v1
	v_add_nc_u32_e32 v28, 0xc00, v1
	ds_load_b32 v47, v21
	ds_load_2addr_b32 v[6:7], v27 offset0:16 offset1:96
	ds_load_2addr_b32 v[16:17], v8 offset0:112 offset1:192
	v_add_nc_u32_e32 v30, 0x400, v1
	v_add_nc_u32_e32 v29, 0x800, v1
	;; [unrolled: 1-line block ×3, first 2 shown]
	ds_load_2addr_b32 v[8:9], v28 offset0:112 offset1:192
	ds_load_2addr_b32 v[14:15], v30 offset0:144 offset1:224
	;; [unrolled: 1-line block ×4, first 2 shown]
	global_wb scope:SCOPE_SE
	s_wait_dscnt 0x0
	s_barrier_signal -1
	s_barrier_wait -1
	global_inv scope:SCOPE_SE
	v_pk_add_f16 v36, v5, v18
	v_pk_add_f16 v31, v18, v5 neg_lo:[0,1] neg_hi:[0,1]
	v_pk_add_f16 v39, v4, v19
	v_pk_add_f16 v32, v19, v4 neg_lo:[0,1] neg_hi:[0,1]
	v_lshrrev_b32_e32 v48, 16, v47
	v_pk_add_f16 v37, v6, v17
	v_lshrrev_b32_e32 v118, 16, v31
	v_pk_mul_f16 v23, 0x3b7639e9, v36
	v_pk_add_f16 v34, v7, v16
	v_pk_add_f16 v33, v16, v7 neg_lo:[0,1] neg_hi:[0,1]
	v_pk_add_f16 v35, v17, v6 neg_lo:[0,1] neg_hi:[0,1]
	v_pk_add_f16 v40, v9, v14
	v_pk_add_f16 v42, v8, v15
	;; [unrolled: 1-line block ×4, first 2 shown]
	v_lshrrev_b32_e32 v87, 16, v36
	v_mul_f16_e32 v55, 0xb964, v31
	v_lshrrev_b32_e32 v116, 16, v32
	v_pk_mul_f16 v24, 0x39e92de8, v39
	v_pk_mul_f16 v26, 0x2de8bbdd, v37
	v_mul_f16_e32 v88, 0xb5c8, v118
	v_pk_fma_f16 v57, 0xb964b5c8, v31, v23 op_sel:[0,0,1] op_sel_hi:[1,1,0]
	v_pk_add_f16 v38, v14, v9 neg_lo:[0,1] neg_hi:[0,1]
	v_pk_add_f16 v41, v15, v8 neg_lo:[0,1] neg_hi:[0,1]
	;; [unrolled: 1-line block ×4, first 2 shown]
	v_lshrrev_b32_e32 v86, 16, v39
	v_mul_f16_e32 v54, 0xbbf7, v32
	v_lshrrev_b32_e32 v115, 16, v33
	v_pk_mul_f16 v25, 0x3722b8d2, v34
	v_pk_mul_f16 v78, 0xb461bacd, v40
	;; [unrolled: 1-line block ×5, first 2 shown]
	v_fma_f16 v90, v87, 0x39e9, -v55
	v_mul_f16_e32 v84, 0xb964, v116
	v_pk_fma_f16 v59, 0xbbf7b964, v32, v24 op_sel:[0,0,1] op_sel_hi:[1,1,0]
	v_pk_fma_f16 v60, 0xb1e1bbf7, v35, v26 op_sel:[0,0,1] op_sel_hi:[1,1,0]
	v_pk_fma_f16 v83, 0xb964b5c8, v31, v23 op_sel:[0,0,1] op_sel_hi:[1,1,0] neg_lo:[0,1,0] neg_hi:[0,1,0]
	v_pk_fma_f16 v80, 0xb1e1bbf7, v35, v26 op_sel:[0,0,1] op_sel_hi:[1,1,0] neg_lo:[0,1,0] neg_hi:[0,1,0]
	v_fmamk_f16 v23, v36, 0x3b76, v88
	v_lshrrev_b32_e32 v26, 16, v57
	v_lshrrev_b32_e32 v71, 16, v34
	v_mul_f16_e32 v53, 0xba62, v33
	v_lshrrev_b32_e32 v114, 16, v35
	v_fma_f16 v91, v86, 0x2de8, -v54
	v_mul_f16_e32 v76, 0xbb29, v115
	v_pk_fma_f16 v58, 0xba62bb29, v33, v25 op_sel:[0,0,1] op_sel_hi:[1,1,0]
	v_pk_fma_f16 v61, 0x3836bbb2, v38, v78 op_sel:[0,0,1] op_sel_hi:[1,1,0]
	v_pk_fma_f16 v62, 0x3bb2ba62, v41, v79 op_sel:[0,0,1] op_sel_hi:[1,1,0]
	v_pk_fma_f16 v63, 0x3b29b836, v43, v82 op_sel:[0,0,1] op_sel_hi:[1,1,0]
	v_pk_fma_f16 v66, 0x35c8b1e1, v45, v89 op_sel:[0,0,1] op_sel_hi:[1,1,0]
	v_pk_fma_f16 v85, 0xbbf7b964, v32, v24 op_sel:[0,0,1] op_sel_hi:[1,1,0] neg_lo:[0,1,0] neg_hi:[0,1,0]
	v_pk_fma_f16 v77, 0xba62bb29, v33, v25 op_sel:[0,0,1] op_sel_hi:[1,1,0] neg_lo:[0,1,0] neg_hi:[0,1,0]
	;; [unrolled: 1-line block ×6, first 2 shown]
	v_add_f16_e32 v24, v48, v90
	v_fmamk_f16 v25, v39, 0x39e9, v84
	v_lshrrev_b32_e32 v89, 16, v59
	v_add_f16_e32 v103, v48, v83
	v_add_f16_e32 v23, v47, v23
	v_add_f16_e32 v26, v47, v26
	v_lshrrev_b32_e32 v69, 16, v37
	v_mul_f16_e32 v52, 0xb1e1, v35
	v_lshrrev_b32_e32 v112, 16, v38
	v_fma_f16 v92, v71, 0xb8d2, -v53
	v_mul_f16_e32 v75, 0xbbf7, v114
	v_fmamk_f16 v90, v34, 0x3722, v76
	v_lshrrev_b32_e32 v98, 16, v58
	v_add_f16_e32 v24, v91, v24
	v_add_f16_e32 v91, v85, v103
	v_add_f16_e32 v23, v25, v23
	v_add_f16_e32 v25, v89, v26
	v_lshrrev_b32_e32 v68, 16, v40
	v_mul_f16_e32 v51, 0x3836, v38
	v_lshrrev_b32_e32 v111, 16, v41
	v_fma_f16 v93, v69, 0xbbdd, -v52
	v_mul_f16_e32 v73, 0xbbb2, v112
	v_fmamk_f16 v99, v37, 0x2de8, v75
	v_lshrrev_b32_e32 v100, 16, v60
	v_add_f16_e32 v24, v92, v24
	;; [unrolled: 11-line block ×4, first 2 shown]
	v_add_f16_e32 v89, v81, v89
	v_add_f16_e32 v23, v101, v23
	;; [unrolled: 1-line block ×3, first 2 shown]
	v_lshrrev_b32_e32 v74, 16, v46
	v_mul_f16_e32 v56, 0x35c8, v45
	v_fma_f16 v96, v72, 0x3722, -v49
	v_mul_f16_e32 v64, 0xb1e1, v119
	v_fmamk_f16 v90, v44, 0xbacd, v65
	v_lshrrev_b32_e32 v91, 16, v63
	v_add_f16_e32 v24, v95, v24
	v_add_f16_e32 v89, v78, v89
	;; [unrolled: 1-line block ×4, first 2 shown]
	v_fma_f16 v97, v74, 0x3b76, -v56
	v_fmamk_f16 v92, v46, 0xbbdd, v64
	v_lshrrev_b32_e32 v93, 16, v66
	v_add_f16_e32 v24, v96, v24
	v_add_f16_e32 v26, v79, v89
	;; [unrolled: 1-line block ×4, first 2 shown]
	s_delay_alu instid0(VALU_DEP_4) | instskip(NEXT) | instid1(VALU_DEP_4)
	v_add_f16_e32 v24, v97, v24
	v_add_f16_e32 v26, v82, v26
	s_delay_alu instid0(VALU_DEP_4) | instskip(NEXT) | instid1(VALU_DEP_4)
	v_add_f16_e32 v25, v92, v23
	v_add_f16_e32 v23, v93, v89
	v_cmpx_gt_u32_e32 0x50, v0
	s_cbranch_execz .LBB0_18
; %bb.17:
	v_mul_f16_e32 v109, 0x3722, v87
	v_mul_f16_e32 v108, 0xb8d2, v86
	;; [unrolled: 1-line block ×5, first 2 shown]
	v_fmamk_f16 v89, v31, 0x3b29, v109
	v_fmamk_f16 v90, v32, 0x3a62, v108
	;; [unrolled: 1-line block ×3, first 2 shown]
	v_mul_f16_e32 v100, 0x39e9, v68
	v_mul_f16_e32 v104, 0xba62, v116
	v_add_f16_e32 v89, v48, v89
	v_fmamk_f16 v96, v36, 0x3722, v106
	v_mul_f16_e32 v124, 0x2de8, v87
	v_mul_f16_e32 v103, 0x31e1, v115
	v_fmamk_f16 v97, v39, 0xb8d2, v104
	v_add_f16_e32 v89, v90, v89
	v_fmamk_f16 v90, v35, 0xbbb2, v101
	v_add_f16_e32 v96, v47, v96
	v_fmamk_f16 v102, v31, 0x3bf7, v124
	v_mul_f16_e32 v120, 0xbbdd, v86
	v_add_f16_e32 v89, v91, v89
	v_fmamk_f16 v91, v38, 0xb964, v100
	v_mul_f16_e32 v98, 0x3b76, v70
	v_mul_f16_e32 v99, 0x3bb2, v114
	v_fmamk_f16 v105, v34, 0xbbdd, v103
	v_add_f16_e32 v89, v90, v89
	v_add_f16_e32 v96, v97, v96
	v_fmamk_f16 v97, v32, 0x31e1, v120
	v_mul_f16_e32 v121, 0xb461, v71
	v_mul_f16_e32 v94, 0x3964, v112
	v_add_f16_e32 v89, v91, v89
	v_add_f16_e32 v91, v48, v102
	v_fmamk_f16 v90, v41, 0x35c8, v98
	v_fmamk_f16 v113, v37, 0xb461, v99
	v_add_f16_e32 v96, v105, v96
	v_mul_f16_e32 v123, 0x3b76, v69
	v_add_f16_e32 v91, v97, v91
	v_fmamk_f16 v97, v33, 0xbbb2, v121
	v_mul_f16_e32 v93, 0x2de8, v72
	v_mul_f16_e32 v95, 0xb5c8, v111
	v_add_f16_e32 v89, v90, v89
	v_fmamk_f16 v90, v40, 0x39e9, v94
	v_add_f16_e32 v96, v113, v96
	v_add_f16_e32 v91, v97, v91
	v_fmamk_f16 v97, v35, 0xb5c8, v123
	v_mul_f16_e32 v126, 0x3722, v68
	v_fmamk_f16 v102, v43, 0x3bf7, v93
	v_add_f16_e32 v90, v90, v96
	v_fmamk_f16 v96, v42, 0x3b76, v95
	v_add_f16_e32 v91, v97, v91
	v_fmamk_f16 v97, v38, 0x3b29, v126
	v_mul_f16_e32 v127, 0xbacd, v70
	v_mul_f16_e32 v105, 0xbbf7, v110
	v_add_f16_e32 v89, v102, v89
	v_add_f16_e32 v90, v96, v90
	;; [unrolled: 1-line block ×3, first 2 shown]
	v_fmamk_f16 v96, v41, 0x3836, v127
	v_mul_f16_e32 v125, 0xb8d2, v72
	v_fmamk_f16 v97, v44, 0x2de8, v105
	v_mul_f16_e32 v102, 0xb836, v119
	v_mul_f16_e32 v92, 0xbacd, v74
	v_add_f16_e32 v91, v96, v91
	v_fmamk_f16 v96, v43, 0xba62, v125
	v_mul_f16_e32 v122, 0x39e9, v74
	v_add_f16_e32 v90, v97, v90
	v_fmamk_f16 v97, v46, 0xbacd, v102
	v_mul_f16_e64 v128, 0xbbf7, v118
	v_fmamk_f16 v113, v45, 0x3836, v92
	v_add_f16_e32 v91, v96, v91
	v_fmamk_f16 v96, v45, 0xb964, v122
	v_mul_f16_e64 v129, 0xb461, v87
	v_add_f16_e32 v90, v97, v90
	v_fma_f16 v97, 0x2de8, v36, v128
	v_mul_f16_e64 v130, 0xb1e1, v116
	v_add_f16_e32 v89, v113, v89
	v_add_f16_e32 v91, v96, v91
	v_fma_f16 v96, 0x3bb2, v31, v129
	v_mul_f16_e64 v131, 0xbacd, v86
	v_add_f16_e32 v97, v47, v97
	v_fma_f16 v113, 0xbbdd, v39, v130
	v_mul_f16_e64 v132, 0x3bb2, v115
	;; [unrolled: 3-line block ×16, first 2 shown]
	v_add_f16_e64 v97, v145, v117
	v_fma_f16 v117, 0x3a62, v31, v146
	v_mul_f16_e64 v145, 0xb461, v86
	v_add_f16_e32 v113, v47, v113
	v_fma_f16 v148, 0xbacd, v39, v147
	v_mul_f16_e64 v149, 0x3964, v115
	v_add_f16_e32 v117, v48, v117
	v_fma_f16 v150, 0xbbb2, v32, v145
	v_mul_f16_e64 v151, 0x3b76, v71
	v_add_f16_e64 v113, v148, v113
	v_fma_f16 v148, 0x39e9, v34, v149
	v_mul_f16_e64 v152, 0xbb29, v114
	v_add_f16_e64 v117, v150, v117
	;; [unrolled: 3-line block ×7, first 2 shown]
	v_fma_f16 v148, 0x2de8, v42, v156
	v_mul_f16_e64 v158, 0xb5c8, v110
	v_mul_f16_e64 v159, 0xba62, v118
	v_add_f16_e64 v117, v150, v117
	v_fma_f16 v150, 0x3964, v41, v157
	v_mul_f16_e64 v160, 0xbbdd, v72
	v_add_f16_e64 v113, v148, v113
	v_fma_f16 v148, 0x3b76, v44, v158
	v_mul_f16_e64 v161, 0xba62, v119
	v_fma_f16 v162, 0xb8d2, v36, v159
	v_mul_f16_e64 v163, 0x3bb2, v116
	v_add_f16_e64 v117, v150, v117
	v_fma_f16 v150, 0x31e1, v43, v160
	v_mul_f16_e64 v164, 0x3722, v74
	v_add_f16_e64 v162, v47, v162
	v_fma_f16 v165, 0xb461, v39, v163
	v_mul_f16_e64 v166, 0xb5c8, v115
	v_add_f16_e64 v113, v148, v113
	v_fma_f16 v148, 0xb8d2, v46, v161
	v_add_f16_e64 v117, v150, v117
	v_add_f16_e64 v150, v165, v162
	v_fma_f16 v162, 0x3b76, v34, v166
	v_mul_f16_e64 v165, 0xb836, v114
	v_fma_f16 v167, 0xbb29, v45, v164
	v_add_f16_e64 v113, v148, v113
	v_mul_f16_e64 v148, 0xbacd, v87
	v_add_f16_e64 v150, v162, v150
	v_fma_f16 v162, 0xbacd, v37, v165
	v_mul_f16_e64 v168, 0x3bf7, v112
	v_add_f16_e64 v117, v167, v117
	v_fma_f16 v167, 0x3836, v31, v148
	;; [unrolled: 3-line block ×10, first 2 shown]
	v_mul_f16_e64 v177, 0xb836, v118
	v_add_f16_e64 v118, v162, v150
	v_mul_f16_e64 v180, 0xb461, v74
	v_fmac_f16_e64 v148, 0xb836, v31
	v_add_f16_e64 v162, v171, v167
	v_fma_f16 v167, 0x31e1, v41, v178
	v_mul_f16_e64 v171, 0x39e9, v72
	v_fmac_f16_e64 v169, 0x3b29, v32
	v_add_f16_e64 v148, v48, v148
	v_fma_f16 v150, 0xbacd, v36, v177
	v_add_f16_e64 v162, v167, v162
	v_fma_f16 v167, 0xb964, v43, v171
	v_mul_f16_e32 v116, 0x3b29, v116
	v_mul_f16_e64 v181, 0xb5c8, v112
	v_add_f16_e64 v148, v169, v148
	v_fmac_f16_e64 v172, 0xbbf7, v33
	v_add_f16_e64 v162, v167, v162
	v_fma_f16 v167, 0x3bb2, v45, v180
	v_add_f16_e64 v150, v47, v150
	v_fma_f16 v179, 0x3722, v39, v116
	v_mul_f16_e32 v115, 0xbbf7, v115
	v_fma_f16 v116, v39, 0x3722, -v116
	v_add_f16_e64 v112, v167, v162
	v_fma_f16 v167, v36, 0xbacd, -v177
	v_add_f16_e64 v148, v172, v148
	v_fmac_f16_e64 v174, 0x3a62, v35
	v_add_f16_e64 v150, v179, v150
	v_fma_f16 v179, 0x2de8, v34, v115
	v_add_f16_e64 v167, v47, v167
	v_mul_f16_e32 v114, 0x3a62, v114
	v_fma_f16 v115, v34, 0x2de8, -v115
	v_add_f16_e64 v148, v174, v148
	v_fmac_f16_e64 v176, 0xb5c8, v38
	v_add_f16_e64 v116, v116, v167
	v_add_f16_e64 v150, v179, v150
	v_fma_f16 v179, 0xb8d2, v37, v114
	v_fma_f16 v114, v37, 0xb8d2, -v114
	v_fmac_f16_e64 v178, 0xb1e1, v41
	v_add_f16_e32 v115, v115, v116
	v_add_f16_e64 v116, v176, v148
	v_add_f16_e64 v150, v179, v150
	v_fma_f16 v162, 0x3b76, v40, v181
	v_mul_f16_e32 v111, 0xb1e1, v111
	v_add_f16_e32 v114, v114, v115
	v_fma_f16 v115, v40, 0x3b76, -v181
	v_add_f16_e64 v116, v178, v116
	v_fmac_f16_e64 v171, 0x3964, v43
	v_add_f16_e64 v150, v162, v150
	v_fma_f16 v162, 0xbbdd, v42, v111
	v_mul_f16_e32 v110, 0x3964, v110
	v_add_f16_e32 v114, v115, v114
	v_fma_f16 v111, v42, 0xbbdd, -v111
	v_add_f16_e64 v115, v171, v116
	v_fmac_f16_e64 v180, 0xbbb2, v45
	v_add_f16_e64 v150, v162, v150
	v_fma_f16 v162, 0x39e9, v44, v110
	v_mul_f16_e32 v119, 0xbbb2, v119
	v_add_f16_e32 v111, v111, v114
	v_fma_f16 v110, v44, 0x39e9, -v110
	v_add_f16_e64 v114, v180, v115
	v_fma_f16 v115, v36, 0xb8d2, -v159
	v_add_f16_e64 v148, v162, v150
	v_fma_f16 v150, 0xb461, v46, v119
	v_add_f16_e32 v110, v110, v111
	v_fma_f16 v111, v46, 0xb461, -v119
	v_add_f16_e32 v115, v47, v115
	v_fma_f16 v119, v39, 0xb461, -v163
	v_fmac_f16_e64 v129, 0xbbb2, v31
	v_fmac_f16_e32 v124, 0xbbf7, v31
	v_add_f16_e32 v110, v111, v110
	v_fmac_f16_e32 v120, 0xb1e1, v32
	v_add_f16_e32 v111, v119, v115
	v_fma_f16 v115, v34, 0x3b76, -v166
	v_add_f16_e64 v119, v48, v129
	v_fma_f16 v129, v36, 0xb461, -v144
	v_add_f16_e32 v124, v48, v124
	v_fma_f16 v128, v36, 0x2de8, -v128
	v_add_f16_e32 v111, v115, v111
	v_fma_f16 v115, v37, 0xbacd, -v165
	v_fmac_f16_e32 v121, 0x3bb2, v33
	v_add_f16_e32 v120, v120, v124
	v_fma_f16 v124, v40, 0xbbdd, -v154
	v_add_f16_e64 v128, v47, v128
	v_add_f16_e32 v111, v115, v111
	v_fma_f16 v115, v40, 0x2de8, -v168
	v_add_f16_e32 v120, v121, v120
	v_fmac_f16_e32 v123, 0x35c8, v35
	v_fma_f16 v121, v42, 0x2de8, -v156
	v_pk_add_f16 v18, v47, v18
	v_add_f16_e32 v111, v115, v111
	v_fma_f16 v115, v42, 0x39e9, -v170
	v_add_f16_e32 v120, v123, v120
	v_fmac_f16_e32 v126, 0xbb29, v38
	v_pk_add_f16 v18, v18, v19
	v_fmac_f16_e32 v127, 0xb836, v41
	v_add_f16_e32 v111, v115, v111
	v_fma_f16 v115, v44, 0xbbdd, -v173
	v_add_f16_e32 v120, v126, v120
	v_fmac_f16_e32 v109, 0xbb29, v31
	v_pk_add_f16 v16, v18, v16
	v_fmac_f16_e32 v125, 0x3a62, v43
	v_add_f16_e32 v111, v115, v111
	v_add_f16_e64 v115, v47, v129
	v_fma_f16 v129, v39, 0xbacd, -v147
	v_add_f16_e32 v120, v127, v120
	v_add_f16_e32 v109, v48, v109
	v_fmac_f16_e32 v108, 0xba62, v32
	v_mul_f16_e32 v87, 0x39e9, v87
	v_add_f16_e64 v115, v129, v115
	v_fma_f16 v129, v34, 0x39e9, -v149
	v_pk_add_f16 v16, v16, v17
	v_fmac_f16_e64 v146, 0xba62, v31
	v_add_f16_e32 v120, v125, v120
	v_fmac_f16_e32 v122, 0x3964, v45
	v_add_f16_e64 v115, v129, v115
	v_fma_f16 v129, v37, 0x3722, -v152
	v_add_f16_e32 v108, v108, v109
	v_fmac_f16_e32 v107, 0x31e1, v33
	v_mul_f16_e32 v86, 0x2de8, v86
	v_add_f16_e32 v55, v55, v87
	v_add_f16_e64 v115, v129, v115
	v_fma_f16 v129, v39, 0xbbdd, -v130
	v_pk_add_f16 v14, v16, v14
	v_add_f16_e64 v116, v48, v146
	v_add_f16_e32 v109, v122, v120
	v_add_f16_e32 v115, v124, v115
	v_add_f16_e64 v124, v129, v128
	v_fma_f16 v128, v34, 0xb461, -v132
	v_fma_f16 v122, v46, 0x39e9, -v142
	v_add_f16_e32 v107, v107, v108
	v_add_f16_e32 v115, v121, v115
	v_fma_f16 v121, v44, 0x3b76, -v158
	v_add_f16_e64 v123, v128, v124
	v_fma_f16 v124, v37, 0x3b76, -v134
	v_mul_f16_e32 v108, 0x3b76, v36
	v_mul_f16_e32 v71, 0xb8d2, v71
	v_add_f16_e32 v115, v121, v115
	v_add_f16_e32 v48, v48, v55
	;; [unrolled: 1-line block ×3, first 2 shown]
	v_fma_f16 v123, v40, 0x3722, -v136
	v_add_f16_e32 v54, v54, v86
	v_pk_add_f16 v14, v14, v15
	v_fmac_f16_e32 v101, 0x3bb2, v35
	v_mul_f16_e32 v69, 0xbbdd, v69
	v_add_f16_e32 v121, v123, v121
	v_fma_f16 v123, v42, 0xbacd, -v138
	v_add_f16_e32 v48, v54, v48
	v_add_f16_e32 v19, v53, v71
	v_sub_f16_e32 v17, v108, v88
	v_pk_add_f16 v12, v14, v12
	v_add_f16_e32 v121, v123, v121
	v_fma_f16 v123, v44, 0xb8d2, -v140
	v_fma_f16 v106, v36, 0x3722, -v106
	v_add_f16_e32 v101, v101, v107
	v_fmac_f16_e32 v100, 0x3964, v38
	v_mul_f16_e32 v107, 0x3722, v34
	v_add_f16_e32 v120, v123, v121
	v_mul_f16_e32 v68, 0xbacd, v68
	v_add_f16_e32 v18, v19, v48
	v_add_f16_e32 v19, v52, v69
	;; [unrolled: 1-line block ×4, first 2 shown]
	v_mul_f16_e32 v122, 0x39e9, v39
	v_pk_add_f16 v12, v12, v13
	v_add_f16_e32 v106, v47, v106
	v_fma_f16 v104, v39, 0xb8d2, -v104
	v_add_f16_e32 v100, v100, v101
	v_sub_f16_e32 v17, v122, v84
	v_mul_f16_e32 v101, 0x2de8, v37
	v_mul_f16_e32 v70, 0xb461, v70
	v_add_f16_e32 v18, v19, v18
	v_add_f16_e32 v19, v51, v68
	;; [unrolled: 1-line block ×3, first 2 shown]
	v_sub_f16_e32 v17, v107, v76
	v_pk_add_f16 v10, v12, v10
	v_fmac_f16_e32 v98, 0xb5c8, v41
	v_add_f16_e32 v104, v104, v106
	v_mul_f16_e32 v106, 0xb461, v40
	v_mul_f16_e32 v72, 0x3722, v72
	v_add_f16_e32 v18, v19, v18
	v_add_f16_e32 v19, v50, v70
	;; [unrolled: 1-line block ×3, first 2 shown]
	v_sub_f16_e32 v17, v101, v75
	v_pk_add_f16 v10, v10, v11
	v_fma_f16 v103, v34, 0xbbdd, -v103
	v_add_f16_e32 v98, v98, v100
	v_mul_f16_e32 v100, 0xb8d2, v42
	v_mul_f16_e32 v74, 0x3b76, v74
	v_add_f16_e32 v18, v19, v18
	v_add_f16_e32 v14, v49, v72
	;; [unrolled: 1-line block ×3, first 2 shown]
	v_sub_f16_e32 v12, v106, v73
	v_pk_add_f16 v8, v10, v8
	v_add_f16_e32 v103, v103, v104
	v_mul_f16_e32 v104, 0xbacd, v44
	v_add_f16_e32 v13, v14, v18
	v_add_f16_e32 v14, v56, v74
	;; [unrolled: 1-line block ×3, first 2 shown]
	v_sub_f16_e32 v12, v100, v67
	v_pk_add_f16 v8, v8, v9
	v_alignbit_b32 v121, v47, v47, 16
	v_mul_f16_e32 v87, 0xbbdd, v46
	v_fmac_f16_e32 v93, 0xbbf7, v43
	v_fma_f16 v99, v37, 0xb461, -v99
	v_add_f16_e32 v13, v14, v13
	v_bfi_b32 v14, 0xffff, v57, v83
	v_add_f16_e32 v11, v12, v11
	v_sub_f16_e32 v12, v104, v65
	v_pk_add_f16 v6, v8, v6
	v_add_f16_e32 v55, v93, v98
	v_add_f16_e32 v86, v99, v103
	v_fma_f16 v93, v40, 0x39e9, -v94
	v_bfi_b32 v17, 0xffff, v59, v85
	v_add_f16_e32 v11, v12, v11
	v_sub_f16_e32 v12, v87, v64
	v_mul_u32_u24_e32 v8, 0x44, v0
	v_pk_add_f16 v14, v121, v14
	v_pk_mul_f16 v36, 0xbbdd, v36 op_sel_hi:[0,1]
	v_pk_add_f16 v6, v6, v7
	v_add_f16_e32 v53, v93, v86
	v_fma_f16 v54, v42, 0x3b76, -v95
	v_bfi_b32 v16, 0xffff, v58, v77
	v_add_f16_e32 v11, v12, v11
	v_add3_u32 v7, 0, v8, v22
	v_pk_add_f16 v8, v17, v14
	v_pk_fma_f16 v12, 0xb1e1, v31, v36 op_sel:[0,0,1] op_sel_hi:[0,1,0] neg_lo:[0,1,0] neg_hi:[0,1,0]
	v_pk_mul_f16 v14, 0x3b76, v39 op_sel_hi:[0,1]
	v_pk_add_f16 v4, v6, v4
	v_pk_fma_f16 v6, 0xb1e1, v31, v36 op_sel:[0,0,1] op_sel_hi:[0,1,0]
	v_fmac_f16_e64 v145, 0x3bb2, v32
	v_fmac_f16_e64 v131, 0x3836, v32
	v_add_f16_e32 v52, v54, v53
	v_fma_f16 v51, v44, 0x2de8, -v105
	v_bfi_b32 v18, 0xffff, v60, v80
	v_pk_add_f16 v8, v16, v8
	v_pk_add_f16 v12, v121, v12
	v_pk_fma_f16 v16, 0x35c8, v32, v14 op_sel:[0,0,1] op_sel_hi:[0,1,0] neg_lo:[0,1,0] neg_hi:[0,1,0]
	v_pk_mul_f16 v17, 0xbacd, v34 op_sel_hi:[0,1]
	v_pk_add_f16 v6, v121, v6
	v_pk_fma_f16 v14, 0x35c8, v32, v14 op_sel:[0,0,1] op_sel_hi:[0,1,0]
	v_add_f16_e64 v116, v145, v116
	v_fmac_f16_e64 v151, 0xb5c8, v33
	v_add_f16_e64 v119, v131, v119
	v_fmac_f16_e64 v133, 0x3964, v33
	v_add_f16_e32 v15, v51, v52
	v_fma_f16 v19, v46, 0xbacd, -v102
	v_bfi_b32 v10, 0xffff, v61, v81
	v_pk_add_f16 v8, v18, v8
	v_pk_add_f16 v12, v16, v12
	v_pk_fma_f16 v16, 0xb836, v33, v17 op_sel:[0,0,1] op_sel_hi:[0,1,0] neg_lo:[0,1,0] neg_hi:[0,1,0]
	v_pk_mul_f16 v18, 0x39e9, v37 op_sel_hi:[0,1]
	v_pk_add_f16 v6, v14, v6
	v_pk_fma_f16 v14, 0xb836, v33, v17 op_sel:[0,0,1] op_sel_hi:[0,1,0]
	v_add_f16_e64 v116, v151, v116
	v_fmac_f16_e64 v153, 0xb836, v35
	v_add_f16_e64 v119, v133, v119
	v_fmac_f16_e64 v135, 0xbb29, v35
	v_add_f16_e32 v15, v19, v15
	v_bfi_b32 v19, 0xffff, v62, v78
	v_pk_add_f16 v8, v10, v8
	v_pk_add_f16 v10, v16, v12
	v_pk_fma_f16 v12, 0x3964, v35, v18 op_sel:[0,0,1] op_sel_hi:[0,1,0] neg_lo:[0,1,0] neg_hi:[0,1,0]
	v_pk_mul_f16 v16, 0xb8d2, v40 op_sel_hi:[0,1]
	v_pk_add_f16 v6, v14, v6
	v_pk_fma_f16 v14, 0x3964, v35, v18 op_sel:[0,0,1] op_sel_hi:[0,1,0]
	v_add_f16_e64 v116, v153, v116
	v_fmac_f16_e64 v155, 0x3bf7, v38
	v_add_f16_e64 v119, v135, v119
	v_fmac_f16_e64 v137, 0xb1e1, v38
	v_bfi_b32 v9, 0xffff, v63, v79
	v_pk_add_f16 v8, v19, v8
	v_pk_add_f16 v10, v12, v10
	v_pk_fma_f16 v12, 0xba62, v38, v16 op_sel:[0,0,1] op_sel_hi:[0,1,0] neg_lo:[0,1,0] neg_hi:[0,1,0]
	v_pk_mul_f16 v17, 0x3722, v42 op_sel_hi:[0,1]
	v_pk_add_f16 v6, v14, v6
	v_pk_fma_f16 v14, 0xba62, v38, v16 op_sel:[0,0,1] op_sel_hi:[0,1,0]
	v_add_f16_e64 v116, v155, v116
	v_fmac_f16_e64 v157, 0xb964, v41
	v_add_f16_e64 v119, v137, v119
	v_fmac_f16_e64 v139, 0x3bf7, v41
	v_pk_add_f16 v8, v9, v8
	v_pk_add_f16 v9, v12, v10
	v_pk_fma_f16 v10, 0x3b29, v41, v17 op_sel:[0,0,1] op_sel_hi:[0,1,0] neg_lo:[0,1,0] neg_hi:[0,1,0]
	v_pk_mul_f16 v12, 0xb461, v44 op_sel_hi:[0,1]
	v_pk_add_f16 v6, v14, v6
	v_pk_fma_f16 v14, 0x3b29, v41, v17 op_sel:[0,0,1] op_sel_hi:[0,1,0]
	v_add_f16_e64 v116, v157, v116
	v_fmac_f16_e64 v160, 0xb1e1, v43
	v_add_f16_e64 v119, v139, v119
	v_fmac_f16_e64 v141, 0xb5c8, v43
	v_bfi_b32 v47, 0xffff, v66, v82
	v_pk_add_f16 v9, v10, v9
	v_pk_fma_f16 v10, 0xbbb2, v43, v12 op_sel:[0,0,1] op_sel_hi:[0,1,0] neg_lo:[0,1,0] neg_hi:[0,1,0]
	v_pk_mul_f16 v16, 0x2de8, v46 op_sel_hi:[0,1]
	v_pk_add_f16 v6, v14, v6
	v_pk_fma_f16 v12, 0xbbb2, v43, v12 op_sel:[0,0,1] op_sel_hi:[0,1,0]
	v_fmac_f16_e32 v92, 0xb836, v45
	v_add_f16_e64 v116, v160, v116
	v_fmac_f16_e64 v164, 0x3b29, v45
	v_fma_f16 v131, v46, 0x3722, -v175
	v_add_f16_e64 v119, v141, v119
	v_fmac_f16_e64 v143, 0xba62, v45
	v_fma_f16 v124, v46, 0xb8d2, -v161
	v_pk_add_f16 v8, v47, v8
	v_pk_add_f16 v9, v10, v9
	v_pk_fma_f16 v10, 0x3bf7, v45, v16 op_sel:[0,0,1] op_sel_hi:[0,1,0] neg_lo:[0,1,0] neg_hi:[0,1,0]
	v_pk_add_f16 v6, v12, v6
	v_pk_fma_f16 v12, 0x3bf7, v45, v16 op_sel:[0,0,1] op_sel_hi:[0,1,0]
	v_add_f16_e32 v48, v92, v55
	v_add_f16_e64 v116, v164, v116
	v_add_f16_e64 v111, v131, v111
	;; [unrolled: 1-line block ×3, first 2 shown]
	v_add_f16_e32 v115, v124, v115
	v_pk_add_f16 v4, v4, v5
	v_alignbit_b32 v5, v13, v8, 16
	v_pack_b32_f16 v13, v110, v114
	v_pk_add_f16 v9, v10, v9
	v_pk_add_f16 v6, v12, v6
	v_add_f16_e64 v148, v150, v148
	v_pack_b32_f16 v8, v11, v8
	v_pack_b32_f16 v11, v120, v109
	;; [unrolled: 1-line block ×5, first 2 shown]
	ds_store_2addr_b32 v7, v4, v13 offset1:7
	v_alignbit_b32 v4, v9, v6, 16
	v_alignbit_b32 v6, v6, v9, 16
	v_pack_b32_f16 v9, v118, v117
	v_pack_b32_f16 v13, v148, v112
	;; [unrolled: 1-line block ×5, first 2 shown]
	v_perm_b32 v18, v24, v23, 0x5040100
	v_perm_b32 v19, v26, v25, 0x5040100
	ds_store_2addr_b32 v7, v8, v5 offset0:1 offset1:2
	ds_store_2addr_b32 v7, v10, v11 offset0:3 offset1:4
	;; [unrolled: 1-line block ×7, first 2 shown]
	ds_store_b32 v7, v19 offset:64
.LBB0_18:
	s_wait_alu 0xfffe
	s_or_b32 exec_lo, exec_lo, s1
	v_add_nc_u32_e32 v4, 0x600, v1
	v_add_nc_u32_e32 v5, 0xe00, v1
	global_wb scope:SCOPE_SE
	s_wait_dscnt 0x0
	s_barrier_signal -1
	s_barrier_wait -1
	global_inv scope:SCOPE_SE
	ds_load_b32 v31, v21
	ds_load_2addr_b32 v[16:17], v30 offset0:16 offset1:101
	ds_load_2addr_b32 v[10:11], v4 offset0:58 offset1:160
	;; [unrolled: 1-line block ×7, first 2 shown]
	v_cmp_gt_u32_e64 s0, 17, v0
                                        ; implicit-def: $vgpr30
                                        ; implicit-def: $vgpr27
                                        ; implicit-def: $vgpr28
                                        ; implicit-def: $vgpr19
                                        ; implicit-def: $vgpr29
                                        ; implicit-def: $vgpr18
	s_delay_alu instid0(VALU_DEP_1)
	s_and_saveexec_b32 s1, s0
	s_cbranch_execz .LBB0_20
; %bb.19:
	ds_load_b32 v23, v1 offset:1020
	ds_load_b32 v25, v1 offset:2108
	;; [unrolled: 1-line block ×5, first 2 shown]
	s_wait_dscnt 0x4
	v_lshrrev_b32_e32 v24, 16, v23
	s_wait_dscnt 0x3
	v_lshrrev_b32_e32 v26, 16, v25
	;; [unrolled: 2-line block ×5, first 2 shown]
.LBB0_20:
	s_wait_alu 0xfffe
	s_or_b32 exec_lo, exec_lo, s1
	v_and_b32_e32 v32, 0xff, v0
	v_add_nc_u16 v33, v0, 0x55
	s_wait_dscnt 0x6
	v_lshrrev_b32_e32 v58, 16, v16
	s_wait_dscnt 0x5
	v_lshrrev_b32_e32 v59, 16, v11
	;; [unrolled: 2-line block ×3, first 2 shown]
	v_mul_lo_u16 v32, 0xf1, v32
	v_and_b32_e32 v34, 0xff, v33
	s_wait_dscnt 0x3
	v_lshrrev_b32_e32 v61, 16, v7
	s_wait_dscnt 0x0
	v_lshrrev_b32_e32 v53, 16, v8
	v_lshrrev_b32_e32 v54, 16, v10
	v_lshrrev_b16 v47, 12, v32
	v_add_nc_u16 v32, v0, 0xaa
	v_mul_lo_u16 v34, 0xf1, v34
	v_lshrrev_b32_e32 v55, 16, v13
	v_lshrrev_b32_e32 v56, 16, v6
	v_mul_lo_u16 v35, v47, 17
	v_and_b32_e32 v36, 0xff, v32
	v_lshrrev_b16 v48, 12, v34
	v_and_b32_e32 v47, 0xffff, v47
	v_lshrrev_b32_e32 v57, 16, v9
	v_sub_nc_u16 v35, v0, v35
	v_mul_lo_u16 v36, 0xf1, v36
	v_mul_lo_u16 v34, v48, 17
	v_and_b32_e32 v48, 0xffff, v48
	v_mad_u32_u24 v47, 0x154, v47, 0
	v_and_b32_e32 v49, 0xff, v35
	v_lshrrev_b16 v50, 12, v36
	v_sub_nc_u16 v33, v33, v34
	v_mad_u32_u24 v48, 0x154, v48, 0
	v_lshrrev_b32_e32 v62, 16, v17
	v_lshlrev_b32_e32 v35, 4, v49
	v_mul_lo_u16 v39, v50, 17
	v_and_b32_e32 v51, 0xff, v33
	v_and_b32_e32 v50, 0xffff, v50
	v_lshlrev_b32_e32 v49, 2, v49
	global_load_b128 v[35:38], v35, s[4:5]
	v_sub_nc_u16 v32, v32, v39
	v_lshrrev_b32_e32 v63, 16, v12
	v_mad_u32_u24 v50, 0x154, v50, 0
	v_add3_u32 v47, v47, v49, v22
	v_lshrrev_b32_e32 v64, 16, v15
	v_and_b32_e32 v52, 0xff, v32
	v_lshlrev_b32_e32 v32, 4, v51
	v_lshlrev_b32_e32 v51, 2, v51
	v_lshrrev_b32_e32 v34, 16, v31
	s_delay_alu instid0(VALU_DEP_4) | instskip(SKIP_1) | instid1(VALU_DEP_4)
	v_lshlrev_b32_e32 v33, 4, v52
	v_lshlrev_b32_e32 v52, 2, v52
	v_add3_u32 v48, v48, v51, v22
	s_clause 0x1
	global_load_b128 v[39:42], v32, s[4:5]
	global_load_b128 v[43:46], v33, s[4:5]
	v_lshrrev_b32_e32 v33, 16, v4
	v_add3_u32 v50, v50, v52, v22
	v_lshrrev_b32_e32 v32, 16, v5
	global_wb scope:SCOPE_SE
	s_wait_loadcnt 0x0
	s_barrier_signal -1
	s_barrier_wait -1
	global_inv scope:SCOPE_SE
	v_lshrrev_b32_e32 v49, 16, v35
	v_lshrrev_b32_e32 v51, 16, v36
	;; [unrolled: 1-line block ×4, first 2 shown]
	s_delay_alu instid0(VALU_DEP_4)
	v_mul_f16_e32 v66, v49, v58
	v_mul_f16_e32 v49, v49, v16
	;; [unrolled: 1-line block ×8, first 2 shown]
	v_fma_f16 v16, v35, v16, -v66
	v_lshrrev_b32_e32 v70, 16, v39
	v_lshrrev_b32_e32 v71, 16, v40
	;; [unrolled: 1-line block ×8, first 2 shown]
	v_fmac_f16_e32 v49, v35, v58
	v_fma_f16 v11, v36, v11, -v67
	v_fmac_f16_e32 v51, v36, v59
	v_fma_f16 v14, v37, v14, -v68
	v_fmac_f16_e32 v52, v37, v60
	v_fma_f16 v7, v38, v7, -v69
	v_fmac_f16_e32 v65, v38, v61
	v_mul_f16_e32 v35, v70, v62
	v_mul_f16_e32 v36, v70, v17
	;; [unrolled: 1-line block ×16, first 2 shown]
	v_fma_f16 v17, v39, v17, -v35
	v_fmac_f16_e32 v36, v39, v62
	v_fma_f16 v12, v40, v12, -v37
	v_fmac_f16_e32 v38, v40, v63
	;; [unrolled: 2-line block ×8, first 2 shown]
	v_add_f16_e32 v35, v31, v16
	v_add_f16_e32 v37, v11, v14
	v_sub_f16_e32 v39, v49, v65
	v_sub_f16_e32 v41, v16, v11
	;; [unrolled: 1-line block ×3, first 2 shown]
	v_add_f16_e32 v43, v16, v7
	v_sub_f16_e32 v44, v11, v16
	v_sub_f16_e32 v45, v14, v7
	v_add_f16_e32 v46, v34, v49
	v_add_f16_e32 v53, v51, v52
	v_sub_f16_e32 v55, v49, v51
	v_sub_f16_e32 v56, v65, v52
	v_add_f16_e32 v57, v49, v65
	v_sub_f16_e32 v49, v51, v49
	v_sub_f16_e32 v58, v52, v65
	;; [unrolled: 1-line block ×5, first 2 shown]
	v_add_f16_e32 v11, v35, v11
	v_fma_f16 v35, -0.5, v37, v31
	v_add_f16_e32 v37, v41, v42
	v_fmac_f16_e32 v31, -0.5, v43
	v_add_f16_e32 v41, v44, v45
	v_add_f16_e32 v42, v46, v51
	v_fma_f16 v43, -0.5, v53, v34
	v_add_f16_e32 v44, v55, v56
	v_add_f16_e32 v45, v49, v58
	;; [unrolled: 1-line block ×4, first 2 shown]
	v_sub_f16_e32 v55, v17, v12
	v_sub_f16_e32 v56, v8, v15
	v_add_f16_e32 v63, v38, v59
	v_fmac_f16_e32 v34, -0.5, v57
	v_add_f16_e32 v57, v17, v8
	v_add_f16_e32 v70, v36, v61
	v_sub_f16_e32 v58, v12, v17
	v_sub_f16_e32 v60, v15, v8
	v_add_f16_e32 v62, v33, v36
	v_sub_f16_e32 v66, v36, v38
	v_sub_f16_e32 v68, v61, v59
	v_add_f16_e32 v74, v5, v10
	v_add_f16_e32 v75, v13, v6
	;; [unrolled: 1-line block ×6, first 2 shown]
	v_sub_f16_e32 v51, v36, v61
	v_sub_f16_e32 v17, v17, v8
	;; [unrolled: 1-line block ×3, first 2 shown]
	v_add_f16_e32 v11, v11, v14
	v_fmamk_f16 v14, v39, 0x3b9c, v35
	v_fmamk_f16 v90, v40, 0xbb9c, v31
	v_fmac_f16_e32 v31, 0x3b9c, v40
	v_add_f16_e32 v42, v42, v52
	v_fmamk_f16 v52, v16, 0xbb9c, v43
	v_add_f16_e32 v12, v46, v12
	v_fma_f16 v46, -0.5, v49, v4
	v_add_f16_e32 v49, v55, v56
	v_fma_f16 v56, -0.5, v63, v33
	v_sub_f16_e32 v53, v38, v59
	v_fmac_f16_e32 v35, 0xbb9c, v39
	v_fmamk_f16 v91, v54, 0x3b9c, v34
	v_fmac_f16_e32 v34, 0xbb9c, v54
	v_fma_f16 v4, -0.5, v57, v4
	v_fmac_f16_e32 v33, -0.5, v70
	v_fmac_f16_e32 v43, 0x3b9c, v16
	v_sub_f16_e32 v36, v38, v36
	v_sub_f16_e32 v76, v67, v73
	;; [unrolled: 1-line block ×6, first 2 shown]
	v_add_f16_e32 v55, v58, v60
	v_add_f16_e32 v38, v62, v38
	v_add_f16_e32 v57, v66, v68
	v_add_f16_e32 v13, v74, v13
	v_fma_f16 v58, -0.5, v75, v5
	v_fma_f16 v66, -0.5, v84, v32
	v_sub_f16_e32 v77, v69, v71
	v_fmac_f16_e32 v5, -0.5, v80
	v_add_f16_e32 v63, v83, v69
	v_fmac_f16_e32 v32, -0.5, v88
	v_fmac_f16_e32 v14, 0x38b4, v40
	v_fmac_f16_e32 v90, 0x38b4, v39
	;; [unrolled: 1-line block ×4, first 2 shown]
	v_add_f16_e32 v12, v12, v15
	v_fmamk_f16 v15, v51, 0x3b9c, v46
	v_fmamk_f16 v39, v17, 0xbb9c, v56
	v_sub_f16_e32 v72, v59, v61
	v_fmac_f16_e32 v35, 0xb8b4, v40
	v_fmac_f16_e32 v91, 0xb8b4, v16
	;; [unrolled: 1-line block ×3, first 2 shown]
	v_fmamk_f16 v16, v53, 0xbb9c, v4
	v_fmac_f16_e32 v4, 0x3b9c, v53
	v_fmamk_f16 v40, v64, 0x3b9c, v33
	v_fmac_f16_e32 v33, 0xbb9c, v64
	v_fmac_f16_e32 v43, 0x38b4, v54
	v_fmac_f16_e32 v46, 0xbb9c, v51
	v_fmac_f16_e32 v56, 0x3b9c, v17
	v_sub_f16_e32 v79, v9, v6
	v_sub_f16_e32 v82, v6, v9
	;; [unrolled: 1-line block ×4, first 2 shown]
	v_add_f16_e32 v38, v38, v59
	v_add_f16_e32 v6, v13, v6
	v_fmamk_f16 v13, v76, 0x3b9c, v58
	v_fmamk_f16 v59, v10, 0xbb9c, v66
	v_sub_f16_e32 v67, v69, v67
	v_sub_f16_e32 v89, v71, v73
	v_add_f16_e32 v7, v11, v7
	v_add_f16_e32 v11, v42, v65
	v_fmamk_f16 v42, v77, 0xbb9c, v5
	v_fmac_f16_e32 v5, 0x3b9c, v77
	v_add_f16_e32 v54, v63, v71
	v_fmamk_f16 v63, v85, 0x3b9c, v32
	v_fmac_f16_e32 v32, 0xbb9c, v85
	v_fmac_f16_e32 v58, 0xbb9c, v76
	;; [unrolled: 1-line block ×7, first 2 shown]
	v_add_f16_e32 v36, v36, v72
	v_fmac_f16_e32 v90, 0x34f2, v41
	v_fmac_f16_e32 v31, 0x34f2, v41
	;; [unrolled: 1-line block ×12, first 2 shown]
	v_add_f16_e32 v60, v78, v79
	v_add_f16_e32 v68, v86, v87
	v_fmac_f16_e32 v13, 0x38b4, v77
	v_fmac_f16_e32 v59, 0xb8b4, v85
	v_add_f16_e32 v62, v81, v82
	v_add_f16_e32 v67, v67, v89
	v_fmac_f16_e32 v42, 0x38b4, v76
	v_fmac_f16_e32 v5, 0xb8b4, v76
	v_fmac_f16_e32 v63, 0xb8b4, v10
	v_fmac_f16_e32 v32, 0x38b4, v10
	v_add_f16_e32 v8, v12, v8
	v_add_f16_e32 v12, v38, v61
	v_fmac_f16_e32 v58, 0xb8b4, v77
	v_fmac_f16_e32 v66, 0x38b4, v85
	v_pack_b32_f16 v7, v7, v11
	v_fmac_f16_e32 v15, 0x34f2, v49
	v_fmac_f16_e32 v39, 0x34f2, v57
	v_pack_b32_f16 v10, v14, v52
	v_add_f16_e32 v6, v6, v9
	v_add_f16_e32 v9, v54, v73
	v_fmac_f16_e32 v16, 0x34f2, v55
	v_fmac_f16_e32 v4, 0x34f2, v55
	;; [unrolled: 1-line block ×4, first 2 shown]
	v_pack_b32_f16 v11, v90, v91
	v_pack_b32_f16 v14, v31, v34
	v_fmac_f16_e32 v46, 0x34f2, v49
	v_fmac_f16_e32 v56, 0x34f2, v57
	v_pack_b32_f16 v17, v35, v43
	v_fmac_f16_e32 v13, 0x34f2, v60
	v_fmac_f16_e32 v59, 0x34f2, v68
	;; [unrolled: 1-line block ×8, first 2 shown]
	v_pack_b32_f16 v8, v8, v12
	ds_store_2addr_b32 v47, v7, v10 offset1:17
	ds_store_2addr_b32 v47, v11, v14 offset0:34 offset1:51
	ds_store_b32 v47, v17 offset:272
	v_pack_b32_f16 v7, v15, v39
	v_pack_b32_f16 v6, v6, v9
	;; [unrolled: 1-line block ×9, first 2 shown]
	ds_store_2addr_b32 v48, v8, v7 offset1:17
	ds_store_2addr_b32 v48, v9, v4 offset0:34 offset1:51
	ds_store_b32 v48, v10 offset:272
	ds_store_2addr_b32 v50, v6, v11 offset1:17
	ds_store_2addr_b32 v50, v12, v5 offset0:34 offset1:51
	ds_store_b32 v50, v13 offset:272
	s_and_saveexec_b32 s1, s0
	s_cbranch_execz .LBB0_22
; %bb.21:
	v_add_nc_u32_e32 v4, 0xff, v0
	s_delay_alu instid0(VALU_DEP_1) | instskip(NEXT) | instid1(VALU_DEP_1)
	v_and_b32_e32 v5, 0xffff, v4
	v_mul_u32_u24_e32 v5, 0xf0f1, v5
	s_delay_alu instid0(VALU_DEP_1) | instskip(NEXT) | instid1(VALU_DEP_1)
	v_lshrrev_b32_e32 v5, 20, v5
	v_mul_lo_u16 v5, v5, 17
	s_delay_alu instid0(VALU_DEP_1) | instskip(NEXT) | instid1(VALU_DEP_1)
	v_sub_nc_u16 v4, v4, v5
	v_and_b32_e32 v8, 0xffff, v4
	s_delay_alu instid0(VALU_DEP_1) | instskip(SKIP_3) | instid1(VALU_DEP_1)
	v_lshlrev_b32_e32 v4, 4, v8
	v_lshlrev_b32_e32 v8, 2, v8
	global_load_b128 v[4:7], v4, s[4:5]
	v_add3_u32 v8, 0, v8, v22
	v_add_nc_u32_e32 v9, 0x1200, v8
	v_add_nc_u32_e32 v14, 0x1400, v8
	s_wait_loadcnt 0x0
	v_lshrrev_b32_e32 v10, 16, v7
	v_lshrrev_b32_e32 v11, 16, v6
	;; [unrolled: 1-line block ×4, first 2 shown]
	s_delay_alu instid0(VALU_DEP_4) | instskip(NEXT) | instid1(VALU_DEP_4)
	v_mul_f16_e32 v15, v27, v10
	v_mul_f16_e32 v16, v19, v11
	s_delay_alu instid0(VALU_DEP_4) | instskip(NEXT) | instid1(VALU_DEP_4)
	v_mul_f16_e32 v17, v18, v12
	v_mul_f16_e32 v22, v25, v13
	;; [unrolled: 1-line block ×6, first 2 shown]
	v_fmac_f16_e32 v15, v30, v7
	v_fmac_f16_e32 v16, v28, v6
	;; [unrolled: 1-line block ×4, first 2 shown]
	v_fma_f16 v4, v25, v4, -v13
	v_fma_f16 v5, v18, v5, -v12
	;; [unrolled: 1-line block ×4, first 2 shown]
	v_add_f16_e32 v10, v24, v22
	v_add_f16_e32 v11, v23, v4
	v_sub_f16_e32 v12, v17, v22
	v_sub_f16_e32 v13, v16, v15
	v_add_f16_e32 v19, v22, v15
	v_add_f16_e32 v28, v17, v16
	;; [unrolled: 1-line block ×4, first 2 shown]
	v_sub_f16_e32 v18, v4, v7
	v_sub_f16_e32 v25, v5, v6
	;; [unrolled: 1-line block ×7, first 2 shown]
	v_add_f16_e32 v10, v10, v17
	v_add_f16_e32 v5, v11, v5
	;; [unrolled: 1-line block ×3, first 2 shown]
	v_fma_f16 v12, -0.5, v19, v24
	v_fmac_f16_e32 v24, -0.5, v28
	v_fma_f16 v19, -0.5, v31, v23
	v_fmac_f16_e32 v23, -0.5, v34
	v_sub_f16_e32 v32, v17, v16
	v_sub_f16_e32 v33, v7, v6
	v_add_f16_e32 v13, v26, v27
	v_add_f16_e32 v10, v10, v16
	v_fmamk_f16 v16, v18, 0x3b9c, v24
	v_fmac_f16_e32 v24, 0xbb9c, v18
	v_fmamk_f16 v27, v22, 0xbb9c, v23
	v_fmac_f16_e32 v23, 0x3b9c, v22
	v_sub_f16_e32 v30, v6, v7
	v_add_f16_e32 v5, v5, v6
	v_fmamk_f16 v6, v25, 0xbb9c, v12
	v_fmac_f16_e32 v12, 0x3b9c, v25
	v_fmamk_f16 v26, v32, 0x3b9c, v19
	v_fmac_f16_e32 v19, 0xbb9c, v32
	v_add_f16_e32 v4, v4, v33
	v_fmac_f16_e32 v24, 0xb8b4, v25
	v_fmac_f16_e32 v23, 0x38b4, v32
	v_add_f16_e32 v17, v29, v30
	v_fmac_f16_e32 v6, 0x38b4, v18
	v_fmac_f16_e32 v12, 0xb8b4, v18
	;; [unrolled: 1-line block ×6, first 2 shown]
	v_add_f16_e32 v10, v10, v15
	v_add_f16_e32 v5, v5, v7
	v_fmac_f16_e32 v24, 0x34f2, v13
	v_fmac_f16_e32 v23, 0x34f2, v4
	;; [unrolled: 1-line block ×8, first 2 shown]
	v_pack_b32_f16 v4, v5, v10
	v_pack_b32_f16 v5, v23, v24
	;; [unrolled: 1-line block ×5, first 2 shown]
	ds_store_2addr_b32 v9, v4, v5 offset0:123 offset1:140
	ds_store_2addr_b32 v14, v7, v6 offset0:29 offset1:46
	ds_store_b32 v8, v10 offset:5372
.LBB0_22:
	s_wait_alu 0xfffe
	s_or_b32 exec_lo, exec_lo, s1
	v_mul_u32_u24_e32 v4, 15, v0
	global_wb scope:SCOPE_SE
	s_wait_dscnt 0x0
	s_barrier_signal -1
	s_barrier_wait -1
	global_inv scope:SCOPE_SE
	v_lshlrev_b32_e32 v16, 2, v4
	v_add_nc_u32_e32 v19, 0x200, v1
	v_add_nc_u32_e32 v35, 0x400, v1
	;; [unrolled: 1-line block ×4, first 2 shown]
	s_clause 0x3
	global_load_b128 v[4:7], v16, s[4:5] offset:272
	global_load_b128 v[8:11], v16, s[4:5] offset:288
	;; [unrolled: 1-line block ×3, first 2 shown]
	global_load_b96 v[16:18], v16, s[4:5] offset:320
	ds_load_b32 v36, v21
	ds_load_b32 v37, v1 offset:5100
	ds_load_2addr_b32 v[21:22], v1 offset0:85 offset1:170
	ds_load_2addr_b32 v[23:24], v19 offset0:127 offset1:212
	ds_load_2addr_b32 v[25:26], v35 offset0:169 offset1:254
	v_add_nc_u32_e32 v19, 0xc00, v1
	v_add_nc_u32_e32 v39, 0x1000, v1
	ds_load_2addr_b32 v[27:28], v38 offset0:83 offset1:168
	ds_load_2addr_b32 v[29:30], v29 offset0:125 offset1:210
	;; [unrolled: 1-line block ×4, first 2 shown]
	v_add_nc_u32_e32 v40, 0x600, v1
	global_wb scope:SCOPE_SE
	s_wait_loadcnt_dscnt 0x0
	s_barrier_signal -1
	s_barrier_wait -1
	global_inv scope:SCOPE_SE
	v_add_nc_u32_e32 v41, 0xe00, v1
	v_lshrrev_b32_e32 v45, 16, v36
	v_lshrrev_b32_e32 v42, 16, v37
	;; [unrolled: 1-line block ×31, first 2 shown]
	v_mul_f16_e32 v73, v58, v43
	v_mul_f16_e32 v58, v58, v21
	;; [unrolled: 1-line block ×30, first 2 shown]
	v_fma_f16 v21, v4, v21, -v73
	v_fmac_f16_e32 v58, v4, v43
	v_fma_f16 v4, v5, v22, -v74
	v_fmac_f16_e32 v59, v5, v44
	;; [unrolled: 2-line block ×15, first 2 shown]
	v_sub_f16_e32 v10, v36, v10
	v_sub_f16_e32 v18, v45, v65
	;; [unrolled: 1-line block ×16, first 2 shown]
	v_fma_f16 v29, v36, 2.0, -v10
	v_fma_f16 v30, v45, 2.0, -v18
	;; [unrolled: 1-line block ×16, first 2 shown]
	v_sub_f16_e32 v22, v10, v22
	v_add_f16_e32 v14, v18, v14
	v_sub_f16_e32 v24, v12, v24
	v_add_f16_e32 v16, v23, v16
	;; [unrolled: 2-line block ×4, first 2 shown]
	v_sub_f16_e32 v6, v29, v6
	v_sub_f16_e32 v31, v30, v31
	v_fma_f16 v10, v10, 2.0, -v22
	v_fma_f16 v18, v18, 2.0, -v14
	v_sub_f16_e32 v8, v4, v8
	v_sub_f16_e32 v33, v32, v33
	v_fma_f16 v12, v12, 2.0, -v24
	v_fma_f16 v23, v23, 2.0, -v16
	;; [unrolled: 4-line block ×4, first 2 shown]
	v_fmamk_f16 v43, v24, 0x39a8, v22
	v_fmamk_f16 v44, v16, 0x39a8, v14
	;; [unrolled: 1-line block ×4, first 2 shown]
	v_fma_f16 v29, v29, 2.0, -v6
	v_fma_f16 v30, v30, 2.0, -v31
	;; [unrolled: 1-line block ×8, first 2 shown]
	v_fmamk_f16 v47, v12, 0xb9a8, v10
	v_fmamk_f16 v48, v23, 0xb9a8, v18
	v_fmac_f16_e32 v43, 0xb9a8, v16
	v_fmac_f16_e32 v44, 0x39a8, v24
	v_fmamk_f16 v16, v13, 0xb9a8, v11
	v_fmamk_f16 v24, v27, 0xb9a8, v25
	v_sub_f16_e32 v33, v6, v33
	v_add_f16_e32 v8, v31, v8
	v_sub_f16_e32 v42, v7, v42
	v_add_f16_e32 v9, v36, v9
	v_fmac_f16_e32 v45, 0xb9a8, v17
	v_fmac_f16_e32 v46, 0x39a8, v28
	v_sub_f16_e32 v4, v29, v4
	v_sub_f16_e32 v17, v30, v32
	v_fmac_f16_e32 v47, 0xb9a8, v23
	v_fmac_f16_e32 v48, 0x39a8, v12
	v_sub_f16_e32 v5, v21, v5
	v_sub_f16_e32 v23, v34, v37
	v_fmac_f16_e32 v16, 0xb9a8, v27
	v_fmac_f16_e32 v24, 0x39a8, v13
	v_fma_f16 v6, v6, 2.0, -v33
	v_fma_f16 v12, v31, 2.0, -v8
	;; [unrolled: 1-line block ×8, first 2 shown]
	v_fmamk_f16 v27, v42, 0x39a8, v33
	v_fmamk_f16 v28, v9, 0x39a8, v8
	;; [unrolled: 1-line block ×4, first 2 shown]
	v_fma_f16 v29, v29, 2.0, -v4
	v_fma_f16 v30, v30, 2.0, -v17
	;; [unrolled: 1-line block ×8, first 2 shown]
	v_fmamk_f16 v36, v7, 0xb9a8, v6
	v_fmamk_f16 v37, v13, 0xb9a8, v12
	;; [unrolled: 1-line block ×6, first 2 shown]
	v_sub_f16_e32 v23, v4, v23
	v_add_f16_e32 v5, v17, v5
	v_fmac_f16_e32 v27, 0xb9a8, v9
	v_fmac_f16_e32 v28, 0x39a8, v42
	;; [unrolled: 1-line block ×4, first 2 shown]
	v_sub_f16_e32 v9, v29, v21
	v_sub_f16_e32 v21, v30, v34
	v_fmamk_f16 v34, v11, 0xbb64, v10
	v_fmamk_f16 v42, v25, 0xbb64, v18
	v_fmac_f16_e32 v36, 0xb9a8, v13
	v_fmac_f16_e32 v37, 0x39a8, v7
	v_fmac_f16_e32 v49, 0xbb64, v15
	v_fmac_f16_e32 v50, 0x3b64, v26
	v_fmac_f16_e32 v51, 0xbb64, v24
	v_fmac_f16_e32 v52, 0x3b64, v16
	v_fma_f16 v4, v4, 2.0, -v23
	v_fma_f16 v7, v17, 2.0, -v5
	;; [unrolled: 1-line block ×6, first 2 shown]
	v_pack_b32_f16 v5, v23, v5
	v_pack_b32_f16 v17, v27, v28
	;; [unrolled: 1-line block ×3, first 2 shown]
	v_fmac_f16_e32 v34, 0xb61f, v25
	v_fmac_f16_e32 v42, 0x361f, v11
	v_fma_f16 v6, v6, 2.0, -v36
	v_fma_f16 v11, v12, 2.0, -v37
	;; [unrolled: 1-line block ×6, first 2 shown]
	v_pack_b32_f16 v4, v4, v7
	v_pack_b32_f16 v7, v13, v8
	;; [unrolled: 1-line block ×3, first 2 shown]
	v_fma_f16 v24, v29, 2.0, -v9
	v_fma_f16 v26, v30, 2.0, -v21
	ds_store_2addr_b32 v39, v17, v23 offset0:166 offset1:251
	v_fma_f16 v10, v10, 2.0, -v34
	v_fma_f16 v17, v18, 2.0, -v42
	v_pack_b32_f16 v13, v36, v37
	v_pack_b32_f16 v15, v49, v50
	;; [unrolled: 1-line block ×7, first 2 shown]
	ds_store_2addr_b32 v40, v7, v8 offset0:126 offset1:211
	v_pack_b32_f16 v7, v34, v42
	v_pack_b32_f16 v18, v24, v26
	;; [unrolled: 1-line block ×3, first 2 shown]
	ds_store_2addr_b32 v19, v13, v15 offset0:82 offset1:167
	ds_store_2addr_b32 v41, v5, v16 offset0:124 offset1:209
	;; [unrolled: 1-line block ×5, first 2 shown]
	ds_store_2addr_b32 v1, v18, v8 offset1:85
	global_wb scope:SCOPE_SE
	s_wait_dscnt 0x0
	s_barrier_signal -1
	s_barrier_wait -1
	global_inv scope:SCOPE_SE
	s_and_saveexec_b32 s0, vcc_lo
	s_cbranch_execz .LBB0_24
; %bb.23:
	v_dual_mov_b32 v1, 0 :: v_dual_add_nc_u32 v4, 0x55, v0
	v_add_co_u32 v31, vcc_lo, s8, v2
	s_wait_alu 0xfffd
	v_add_co_ci_u32_e32 v32, vcc_lo, s9, v3, vcc_lo
	s_delay_alu instid0(VALU_DEP_3) | instskip(SKIP_3) | instid1(VALU_DEP_4)
	v_dual_mov_b32 v5, v1 :: v_dual_add_nc_u32 v8, 0xaa, v0
	v_lshlrev_b64_e32 v[2:3], 2, v[0:1]
	v_dual_mov_b32 v9, v1 :: v_dual_add_nc_u32 v10, 0xff, v0
	v_lshl_add_u32 v30, v0, 2, v20
	v_lshlrev_b64_e32 v[4:5], 2, v[4:5]
	v_dual_mov_b32 v11, v1 :: v_dual_add_nc_u32 v14, 0x154, v0
	v_add_co_u32 v2, vcc_lo, v31, v2
	v_lshlrev_b64_e32 v[8:9], 2, v[8:9]
	v_dual_mov_b32 v15, v1 :: v_dual_add_nc_u32 v16, 0x400, v30
	s_wait_alu 0xfffd
	v_add_co_ci_u32_e32 v3, vcc_lo, v32, v3, vcc_lo
	ds_load_2addr_b32 v[6:7], v30 offset1:85
	v_add_co_u32 v4, vcc_lo, v31, v4
	v_lshlrev_b64_e32 v[10:11], 2, v[10:11]
	v_dual_mov_b32 v19, v1 :: v_dual_add_nc_u32 v18, 0x1a9, v0
	v_dual_mov_b32 v23, v1 :: v_dual_add_nc_u32 v24, 0x600, v30
	s_wait_alu 0xfffd
	v_add_co_ci_u32_e32 v5, vcc_lo, v32, v5, vcc_lo
	ds_load_2addr_b32 v[12:13], v30 offset0:170 offset1:255
	v_add_co_u32 v8, vcc_lo, v31, v8
	v_lshlrev_b64_e32 v[14:15], 2, v[14:15]
	ds_load_2addr_b32 v[16:17], v16 offset0:84 offset1:169
	v_dual_mov_b32 v21, v1 :: v_dual_add_nc_u32 v20, 0x1fe, v0
	s_wait_alu 0xfffd
	v_add_co_ci_u32_e32 v9, vcc_lo, v32, v9, vcc_lo
	v_add_co_u32 v10, vcc_lo, v31, v10
	v_lshlrev_b64_e32 v[18:19], 2, v[18:19]
	ds_load_2addr_b32 v[24:25], v24 offset0:126 offset1:211
	v_dual_mov_b32 v27, v1 :: v_dual_add_nc_u32 v22, 0x253, v0
	s_wait_alu 0xfffd
	v_add_co_ci_u32_e32 v11, vcc_lo, v32, v11, vcc_lo
	v_add_co_u32 v14, vcc_lo, v31, v14
	v_lshlrev_b64_e32 v[20:21], 2, v[20:21]
	s_wait_alu 0xfffd
	v_add_co_ci_u32_e32 v15, vcc_lo, v32, v15, vcc_lo
	v_add_co_u32 v18, vcc_lo, v31, v18
	v_lshlrev_b64_e32 v[22:23], 2, v[22:23]
	s_wait_alu 0xfffd
	v_add_co_ci_u32_e32 v19, vcc_lo, v32, v19, vcc_lo
	v_add_co_u32 v20, vcc_lo, v31, v20
	v_dual_mov_b32 v29, v1 :: v_dual_add_nc_u32 v26, 0x2a8, v0
	s_wait_alu 0xfffd
	v_add_co_ci_u32_e32 v21, vcc_lo, v32, v21, vcc_lo
	v_add_co_u32 v22, vcc_lo, v31, v22
	v_add_nc_u32_e32 v28, 0x2fd, v0
	s_wait_alu 0xfffd
	v_add_co_ci_u32_e32 v23, vcc_lo, v32, v23, vcc_lo
	s_wait_dscnt 0x3
	s_clause 0x1
	global_store_b32 v[2:3], v6, off
	global_store_b32 v[4:5], v7, off
	s_wait_dscnt 0x2
	s_clause 0x1
	global_store_b32 v[8:9], v12, off
	global_store_b32 v[10:11], v13, off
	;; [unrolled: 4-line block ×4, first 2 shown]
	v_mov_b32_e32 v9, v1
	v_lshlrev_b64_e32 v[2:3], 2, v[26:27]
	v_dual_mov_b32 v13, v1 :: v_dual_add_nc_u32 v8, 0x352, v0
	v_lshlrev_b64_e32 v[6:7], 2, v[28:29]
	v_add_nc_u32_e32 v33, 0x800, v30
	v_dual_mov_b32 v17, v1 :: v_dual_add_nc_u32 v12, 0x3a7, v0
	v_add_co_u32 v2, vcc_lo, v31, v2
	v_dual_mov_b32 v15, v1 :: v_dual_add_nc_u32 v10, 0xc00, v30
	v_lshlrev_b64_e32 v[8:9], 2, v[8:9]
	v_dual_mov_b32 v21, v1 :: v_dual_add_nc_u32 v14, 0x3fc, v0
	s_wait_alu 0xfffd
	v_add_co_ci_u32_e32 v3, vcc_lo, v32, v3, vcc_lo
	v_add_nc_u32_e32 v18, 0xe00, v30
	ds_load_2addr_b32 v[4:5], v33 offset0:168 offset1:253
	v_add_co_u32 v6, vcc_lo, v31, v6
	v_lshlrev_b64_e32 v[12:13], 2, v[12:13]
	v_add_nc_u32_e32 v16, 0x451, v0
	v_add_nc_u32_e32 v22, 0x1000, v30
	s_wait_alu 0xfffd
	v_add_co_ci_u32_e32 v7, vcc_lo, v32, v7, vcc_lo
	ds_load_2addr_b32 v[10:11], v10 offset0:82 offset1:167
	v_add_co_u32 v8, vcc_lo, v31, v8
	v_lshlrev_b64_e32 v[14:15], 2, v[14:15]
	ds_load_2addr_b32 v[18:19], v18 offset0:124 offset1:209
	v_add_nc_u32_e32 v20, 0x4a6, v0
	s_wait_alu 0xfffd
	v_add_co_ci_u32_e32 v9, vcc_lo, v32, v9, vcc_lo
	v_add_co_u32 v12, vcc_lo, v31, v12
	v_lshlrev_b64_e32 v[16:17], 2, v[16:17]
	ds_load_2addr_b32 v[22:23], v22 offset0:166 offset1:251
	v_add_nc_u32_e32 v0, 0x4fb, v0
	s_wait_alu 0xfffd
	v_add_co_ci_u32_e32 v13, vcc_lo, v32, v13, vcc_lo
	v_add_co_u32 v14, vcc_lo, v31, v14
	v_lshlrev_b64_e32 v[20:21], 2, v[20:21]
	s_wait_alu 0xfffd
	v_add_co_ci_u32_e32 v15, vcc_lo, v32, v15, vcc_lo
	v_add_co_u32 v16, vcc_lo, v31, v16
	v_lshlrev_b64_e32 v[0:1], 2, v[0:1]
	s_wait_alu 0xfffd
	v_add_co_ci_u32_e32 v17, vcc_lo, v32, v17, vcc_lo
	v_add_co_u32 v20, vcc_lo, v31, v20
	s_wait_alu 0xfffd
	v_add_co_ci_u32_e32 v21, vcc_lo, v32, v21, vcc_lo
	v_add_co_u32 v0, vcc_lo, v31, v0
	s_wait_alu 0xfffd
	v_add_co_ci_u32_e32 v1, vcc_lo, v32, v1, vcc_lo
	s_wait_dscnt 0x3
	s_clause 0x1
	global_store_b32 v[2:3], v4, off
	global_store_b32 v[6:7], v5, off
	s_wait_dscnt 0x2
	s_clause 0x1
	global_store_b32 v[8:9], v10, off
	global_store_b32 v[12:13], v11, off
	;; [unrolled: 4-line block ×4, first 2 shown]
.LBB0_24:
	s_nop 0
	s_sendmsg sendmsg(MSG_DEALLOC_VGPRS)
	s_endpgm
	.section	.rodata,"a",@progbits
	.p2align	6, 0x0
	.amdhsa_kernel fft_rtc_fwd_len1360_factors_17_5_16_wgs_255_tpt_85_halfLds_half_ip_CI_unitstride_sbrr_C2R_dirReg
		.amdhsa_group_segment_fixed_size 0
		.amdhsa_private_segment_fixed_size 0
		.amdhsa_kernarg_size 88
		.amdhsa_user_sgpr_count 2
		.amdhsa_user_sgpr_dispatch_ptr 0
		.amdhsa_user_sgpr_queue_ptr 0
		.amdhsa_user_sgpr_kernarg_segment_ptr 1
		.amdhsa_user_sgpr_dispatch_id 0
		.amdhsa_user_sgpr_private_segment_size 0
		.amdhsa_wavefront_size32 1
		.amdhsa_uses_dynamic_stack 0
		.amdhsa_enable_private_segment 0
		.amdhsa_system_sgpr_workgroup_id_x 1
		.amdhsa_system_sgpr_workgroup_id_y 0
		.amdhsa_system_sgpr_workgroup_id_z 0
		.amdhsa_system_sgpr_workgroup_info 0
		.amdhsa_system_vgpr_workitem_id 0
		.amdhsa_next_free_vgpr 182
		.amdhsa_next_free_sgpr 32
		.amdhsa_reserve_vcc 1
		.amdhsa_float_round_mode_32 0
		.amdhsa_float_round_mode_16_64 0
		.amdhsa_float_denorm_mode_32 3
		.amdhsa_float_denorm_mode_16_64 3
		.amdhsa_fp16_overflow 0
		.amdhsa_workgroup_processor_mode 1
		.amdhsa_memory_ordered 1
		.amdhsa_forward_progress 0
		.amdhsa_round_robin_scheduling 0
		.amdhsa_exception_fp_ieee_invalid_op 0
		.amdhsa_exception_fp_denorm_src 0
		.amdhsa_exception_fp_ieee_div_zero 0
		.amdhsa_exception_fp_ieee_overflow 0
		.amdhsa_exception_fp_ieee_underflow 0
		.amdhsa_exception_fp_ieee_inexact 0
		.amdhsa_exception_int_div_zero 0
	.end_amdhsa_kernel
	.text
.Lfunc_end0:
	.size	fft_rtc_fwd_len1360_factors_17_5_16_wgs_255_tpt_85_halfLds_half_ip_CI_unitstride_sbrr_C2R_dirReg, .Lfunc_end0-fft_rtc_fwd_len1360_factors_17_5_16_wgs_255_tpt_85_halfLds_half_ip_CI_unitstride_sbrr_C2R_dirReg
                                        ; -- End function
	.section	.AMDGPU.csdata,"",@progbits
; Kernel info:
; codeLenInByte = 14956
; NumSgprs: 34
; NumVgprs: 182
; ScratchSize: 0
; MemoryBound: 0
; FloatMode: 240
; IeeeMode: 1
; LDSByteSize: 0 bytes/workgroup (compile time only)
; SGPRBlocks: 4
; VGPRBlocks: 22
; NumSGPRsForWavesPerEU: 34
; NumVGPRsForWavesPerEU: 182
; Occupancy: 8
; WaveLimiterHint : 1
; COMPUTE_PGM_RSRC2:SCRATCH_EN: 0
; COMPUTE_PGM_RSRC2:USER_SGPR: 2
; COMPUTE_PGM_RSRC2:TRAP_HANDLER: 0
; COMPUTE_PGM_RSRC2:TGID_X_EN: 1
; COMPUTE_PGM_RSRC2:TGID_Y_EN: 0
; COMPUTE_PGM_RSRC2:TGID_Z_EN: 0
; COMPUTE_PGM_RSRC2:TIDIG_COMP_CNT: 0
	.text
	.p2alignl 7, 3214868480
	.fill 96, 4, 3214868480
	.type	__hip_cuid_71f3b59180d687ed,@object ; @__hip_cuid_71f3b59180d687ed
	.section	.bss,"aw",@nobits
	.globl	__hip_cuid_71f3b59180d687ed
__hip_cuid_71f3b59180d687ed:
	.byte	0                               ; 0x0
	.size	__hip_cuid_71f3b59180d687ed, 1

	.ident	"AMD clang version 19.0.0git (https://github.com/RadeonOpenCompute/llvm-project roc-6.4.0 25133 c7fe45cf4b819c5991fe208aaa96edf142730f1d)"
	.section	".note.GNU-stack","",@progbits
	.addrsig
	.addrsig_sym __hip_cuid_71f3b59180d687ed
	.amdgpu_metadata
---
amdhsa.kernels:
  - .args:
      - .actual_access:  read_only
        .address_space:  global
        .offset:         0
        .size:           8
        .value_kind:     global_buffer
      - .offset:         8
        .size:           8
        .value_kind:     by_value
      - .actual_access:  read_only
        .address_space:  global
        .offset:         16
        .size:           8
        .value_kind:     global_buffer
      - .actual_access:  read_only
        .address_space:  global
        .offset:         24
        .size:           8
        .value_kind:     global_buffer
      - .offset:         32
        .size:           8
        .value_kind:     by_value
      - .actual_access:  read_only
        .address_space:  global
        .offset:         40
        .size:           8
        .value_kind:     global_buffer
      - .actual_access:  read_only
        .address_space:  global
        .offset:         48
        .size:           8
        .value_kind:     global_buffer
      - .offset:         56
        .size:           4
        .value_kind:     by_value
      - .actual_access:  read_only
        .address_space:  global
        .offset:         64
        .size:           8
        .value_kind:     global_buffer
      - .actual_access:  read_only
        .address_space:  global
        .offset:         72
        .size:           8
        .value_kind:     global_buffer
      - .address_space:  global
        .offset:         80
        .size:           8
        .value_kind:     global_buffer
    .group_segment_fixed_size: 0
    .kernarg_segment_align: 8
    .kernarg_segment_size: 88
    .language:       OpenCL C
    .language_version:
      - 2
      - 0
    .max_flat_workgroup_size: 255
    .name:           fft_rtc_fwd_len1360_factors_17_5_16_wgs_255_tpt_85_halfLds_half_ip_CI_unitstride_sbrr_C2R_dirReg
    .private_segment_fixed_size: 0
    .sgpr_count:     34
    .sgpr_spill_count: 0
    .symbol:         fft_rtc_fwd_len1360_factors_17_5_16_wgs_255_tpt_85_halfLds_half_ip_CI_unitstride_sbrr_C2R_dirReg.kd
    .uniform_work_group_size: 1
    .uses_dynamic_stack: false
    .vgpr_count:     182
    .vgpr_spill_count: 0
    .wavefront_size: 32
    .workgroup_processor_mode: 1
amdhsa.target:   amdgcn-amd-amdhsa--gfx1201
amdhsa.version:
  - 1
  - 2
...

	.end_amdgpu_metadata
